;; amdgpu-corpus repo=ROCm/aiter kind=compiled arch=gfx90a opt=O3
	.text
	.amdgcn_target "amdgcn-amd-amdhsa--gfx90a"
	.amdhsa_code_object_version 6
	.section	.text._ZN7ck_tileL11flush_cacheEv,"axG",@progbits,_ZN7ck_tileL11flush_cacheEv,comdat
	.globl	_ZN7ck_tileL11flush_cacheEv     ; -- Begin function _ZN7ck_tileL11flush_cacheEv
	.p2align	8
	.type	_ZN7ck_tileL11flush_cacheEv,@function
_ZN7ck_tileL11flush_cacheEv:            ; @_ZN7ck_tileL11flush_cacheEv
; %bb.0:
	;;#ASMSTART
	s_icache_inv 
	s_nop 0 
	s_nop 0 
	;; [unrolled: 1-line block ×16, first 2 shown]
	
	;;#ASMEND
	s_endpgm
	.section	.rodata,"a",@progbits
	.p2align	6, 0x0
	.amdhsa_kernel _ZN7ck_tileL11flush_cacheEv
		.amdhsa_group_segment_fixed_size 0
		.amdhsa_private_segment_fixed_size 0
		.amdhsa_kernarg_size 0
		.amdhsa_user_sgpr_count 4
		.amdhsa_user_sgpr_private_segment_buffer 1
		.amdhsa_user_sgpr_dispatch_ptr 0
		.amdhsa_user_sgpr_queue_ptr 0
		.amdhsa_user_sgpr_kernarg_segment_ptr 0
		.amdhsa_user_sgpr_dispatch_id 0
		.amdhsa_user_sgpr_flat_scratch_init 0
		.amdhsa_user_sgpr_kernarg_preload_length 0
		.amdhsa_user_sgpr_kernarg_preload_offset 0
		.amdhsa_user_sgpr_private_segment_size 0
		.amdhsa_uses_dynamic_stack 0
		.amdhsa_system_sgpr_private_segment_wavefront_offset 0
		.amdhsa_system_sgpr_workgroup_id_x 1
		.amdhsa_system_sgpr_workgroup_id_y 0
		.amdhsa_system_sgpr_workgroup_id_z 0
		.amdhsa_system_sgpr_workgroup_info 0
		.amdhsa_system_vgpr_workitem_id 0
		.amdhsa_next_free_vgpr 1
		.amdhsa_next_free_sgpr 0
		.amdhsa_accum_offset 4
		.amdhsa_reserve_vcc 0
		.amdhsa_reserve_flat_scratch 0
		.amdhsa_float_round_mode_32 0
		.amdhsa_float_round_mode_16_64 0
		.amdhsa_float_denorm_mode_32 3
		.amdhsa_float_denorm_mode_16_64 3
		.amdhsa_dx10_clamp 1
		.amdhsa_ieee_mode 1
		.amdhsa_fp16_overflow 0
		.amdhsa_tg_split 0
		.amdhsa_exception_fp_ieee_invalid_op 0
		.amdhsa_exception_fp_denorm_src 0
		.amdhsa_exception_fp_ieee_div_zero 0
		.amdhsa_exception_fp_ieee_overflow 0
		.amdhsa_exception_fp_ieee_underflow 0
		.amdhsa_exception_fp_ieee_inexact 0
		.amdhsa_exception_int_div_zero 0
	.end_amdhsa_kernel
	.section	.text._ZN7ck_tileL11flush_cacheEv,"axG",@progbits,_ZN7ck_tileL11flush_cacheEv,comdat
.Lfunc_end0:
	.size	_ZN7ck_tileL11flush_cacheEv, .Lfunc_end0-_ZN7ck_tileL11flush_cacheEv
                                        ; -- End function
	.section	.AMDGPU.csdata,"",@progbits
; Kernel info:
; codeLenInByte = 140
; NumSgprs: 4
; NumVgprs: 0
; NumAgprs: 0
; TotalNumVgprs: 0
; ScratchSize: 0
; MemoryBound: 0
; FloatMode: 240
; IeeeMode: 1
; LDSByteSize: 0 bytes/workgroup (compile time only)
; SGPRBlocks: 0
; VGPRBlocks: 0
; NumSGPRsForWavesPerEU: 4
; NumVGPRsForWavesPerEU: 1
; AccumOffset: 4
; Occupancy: 8
; WaveLimiterHint : 0
; COMPUTE_PGM_RSRC2:SCRATCH_EN: 0
; COMPUTE_PGM_RSRC2:USER_SGPR: 4
; COMPUTE_PGM_RSRC2:TRAP_HANDLER: 0
; COMPUTE_PGM_RSRC2:TGID_X_EN: 1
; COMPUTE_PGM_RSRC2:TGID_Y_EN: 0
; COMPUTE_PGM_RSRC2:TGID_Z_EN: 0
; COMPUTE_PGM_RSRC2:TIDIG_COMP_CNT: 0
; COMPUTE_PGM_RSRC3_GFX90A:ACCUM_OFFSET: 0
; COMPUTE_PGM_RSRC3_GFX90A:TG_SPLIT: 0
	.section	.text._ZN4vllm23rotary_embedding_kernelIfLb1ELb1EEEvPKlPT_S4_PKS3_S6_illiii,"axG",@progbits,_ZN4vllm23rotary_embedding_kernelIfLb1ELb1EEEvPKlPT_S4_PKS3_S6_illiii,comdat
	.protected	_ZN4vllm23rotary_embedding_kernelIfLb1ELb1EEEvPKlPT_S4_PKS3_S6_illiii ; -- Begin function _ZN4vllm23rotary_embedding_kernelIfLb1ELb1EEEvPKlPT_S4_PKS3_S6_illiii
	.globl	_ZN4vllm23rotary_embedding_kernelIfLb1ELb1EEEvPKlPT_S4_PKS3_S6_illiii
	.p2align	8
	.type	_ZN4vllm23rotary_embedding_kernelIfLb1ELb1EEEvPKlPT_S4_PKS3_S6_illiii,@function
_ZN4vllm23rotary_embedding_kernelIfLb1ELb1EEEvPKlPT_S4_PKS3_S6_illiii: ; @_ZN4vllm23rotary_embedding_kernelIfLb1ELb1EEEvPKlPT_S4_PKS3_S6_illiii
; %bb.0:
	s_load_dword s25, s[4:5], 0x28
	s_load_dwordx2 s[8:9], s[4:5], 0x0
	s_load_dwordx4 s[0:3], s[4:5], 0x10
	s_ashr_i32 s7, s6, 31
	s_lshl_b64 s[10:11], s[6:7], 3
	s_waitcnt lgkmcnt(0)
	s_ashr_i32 s22, s25, 31
	s_add_u32 s16, s8, s10
	s_addc_u32 s17, s9, s11
	s_load_dwordx2 s[18:19], s[16:17], 0x0
	s_load_dwordx2 s[20:21], s[4:5], 0x20
	s_load_dwordx8 s[8:15], s[4:5], 0x30
	s_waitcnt lgkmcnt(0)
	s_mul_i32 s15, s18, s22
	s_mul_hi_u32 s16, s18, s25
	s_add_i32 s15, s16, s15
	s_mul_i32 s16, s19, s25
	s_add_i32 s15, s15, s16
	s_mul_i32 s16, s18, s25
	s_lshr_b32 s17, s15, 31
	s_add_u32 s16, s16, s17
	s_addc_u32 s17, s15, 0
	s_lshl_b64 s[16:17], s[16:17], 1
	s_and_b32 s16, s16, -4
	s_add_u32 s15, s2, s16
	s_addc_u32 s23, s3, s17
	s_add_u32 s22, s20, s16
	s_addc_u32 s24, s21, s17
	s_lshr_b32 s2, s25, 31
	s_add_i32 s2, s25, s2
	s_ashr_i32 s2, s2, 1
	s_mul_i32 s12, s2, s12
	s_sub_i32 s16, s14, s25
	s_ashr_i32 s17, s16, 31
	v_cmp_gt_i32_e32 vcc, s12, v0
	s_and_saveexec_b64 s[18:19], vcc
	s_cbranch_execz .LBB1_3
; %bb.1:
	s_load_dwordx2 s[20:21], s[4:5], 0x8
	s_load_dword s28, s[4:5], 0x5c
	s_lshl_b64 s[26:27], s[16:17], 2
	s_mul_i32 s3, s6, s9
	s_mul_hi_u32 s9, s6, s8
	s_waitcnt lgkmcnt(0)
	s_add_u32 s20, s20, s26
	s_addc_u32 s21, s21, s27
	s_add_i32 s3, s9, s3
	s_mul_i32 s9, s7, s8
	s_add_i32 s9, s3, s9
	s_mul_i32 s8, s6, s8
	s_lshl_b64 s[8:9], s[8:9], 2
	s_add_u32 s25, s20, s8
	s_addc_u32 s20, s21, s9
	s_abs_i32 s26, s2
	v_cvt_f32_u32_e32 v1, s26
	s_sub_i32 s21, 0, s26
	s_ashr_i32 s3, s2, 31
	v_mov_b32_e32 v3, s20
	v_rcp_iflag_f32_e32 v1, v1
	s_mov_b64 s[8:9], 0
	s_and_b32 s27, s28, 0xffff
	s_sub_i32 s28, 0, s2
	v_mul_f32_e32 v1, 0x4f7ffffe, v1
	v_cvt_u32_f32_e32 v1, v1
	v_mov_b32_e32 v4, s23
	v_mov_b32_e32 v5, s24
	v_mul_lo_u32 v2, s21, v1
	v_mul_hi_u32 v2, v1, v2
	s_lshl_b64 s[20:21], s[2:3], 2
	v_add_u32_e32 v1, v1, v2
	v_mov_b32_e32 v6, s21
	v_mov_b32_e32 v2, v0
.LBB1_2:                                ; =>This Inner Loop Header: Depth=1
	v_sub_u32_e32 v8, 0, v2
	v_max_i32_e32 v8, v2, v8
	v_mul_hi_u32 v9, v8, v1
	v_mul_lo_u32 v10, v9, s26
	v_sub_u32_e32 v8, v8, v10
	v_add_u32_e32 v11, 1, v9
	v_cmp_le_u32_e32 vcc, s26, v8
	v_subrev_u32_e32 v10, s26, v8
	v_cndmask_b32_e32 v9, v9, v11, vcc
	v_cndmask_b32_e32 v8, v8, v10, vcc
	v_ashrrev_i32_e32 v7, 31, v2
	v_add_u32_e32 v10, 1, v9
	v_cmp_le_u32_e32 vcc, s26, v8
	v_xor_b32_e32 v7, s3, v7
	v_cndmask_b32_e32 v8, v9, v10, vcc
	v_xor_b32_e32 v8, v8, v7
	v_sub_u32_e32 v7, v8, v7
	v_mul_lo_u32 v8, v7, s14
	v_ashrrev_i32_e32 v9, 31, v8
	v_mad_u64_u32 v[10:11], s[30:31], s28, v7, v[2:3]
	v_lshlrev_b64 v[8:9], 2, v[8:9]
	v_ashrrev_i32_e32 v11, 31, v10
	v_add_co_u32_e32 v7, vcc, s25, v8
	v_lshlrev_b64 v[10:11], 2, v[10:11]
	v_addc_co_u32_e32 v14, vcc, v3, v9, vcc
	v_add_co_u32_e32 v8, vcc, s15, v10
	v_addc_co_u32_e32 v9, vcc, v4, v11, vcc
	v_add_co_u32_e32 v12, vcc, s22, v10
	v_addc_co_u32_e32 v13, vcc, v5, v11, vcc
	global_load_dword v15, v[8:9], off
	global_load_dword v16, v[12:13], off
	v_add_co_u32_e32 v8, vcc, v7, v10
	v_addc_co_u32_e32 v9, vcc, v14, v11, vcc
	v_add_co_u32_e32 v10, vcc, s20, v8
	v_addc_co_u32_e32 v11, vcc, v9, v6, vcc
	global_load_dword v7, v[8:9], off
	global_load_dword v12, v[10:11], off
	v_add_u32_e32 v2, s27, v2
	v_cmp_le_i32_e32 vcc, s12, v2
	s_or_b64 s[8:9], vcc, s[8:9]
	s_waitcnt vmcnt(0)
	v_mul_f32_e32 v13, v16, v12
	v_mul_f32_e32 v12, v15, v12
	v_fma_f32 v13, v15, v7, -v13
	v_fmac_f32_e32 v12, v16, v7
	global_store_dword v[8:9], v13, off
	global_store_dword v[10:11], v12, off
	s_andn2_b64 exec, exec, s[8:9]
	s_cbranch_execnz .LBB1_2
.LBB1_3:
	s_or_b64 exec, exec, s[18:19]
	s_mul_i32 s8, s2, s13
	v_cmp_gt_i32_e32 vcc, s8, v0
	s_and_saveexec_b64 s[12:13], vcc
	s_cbranch_execz .LBB1_6
; %bb.4:
	s_lshl_b64 s[12:13], s[16:17], 2
	s_add_u32 s3, s0, s12
	s_addc_u32 s9, s1, s13
	s_mul_i32 s0, s6, s11
	s_mul_hi_u32 s1, s6, s10
	s_add_i32 s0, s1, s0
	s_mul_i32 s1, s7, s10
	s_add_i32 s1, s0, s1
	s_mul_i32 s0, s6, s10
	s_lshl_b64 s[0:1], s[0:1], 2
	s_add_u32 s6, s3, s0
	s_addc_u32 s11, s9, s1
	s_abs_i32 s7, s2
	v_cvt_f32_u32_e32 v1, s7
	s_load_dword s0, s[4:5], 0x5c
	s_ashr_i32 s3, s2, 31
	s_lshl_b64 s[4:5], s[2:3], 2
	v_rcp_iflag_f32_e32 v1, v1
	s_sub_i32 s10, 0, s2
	s_waitcnt lgkmcnt(0)
	s_and_b32 s9, s0, 0xffff
	s_sub_i32 s0, 0, s7
	v_mul_f32_e32 v1, 0x4f7ffffe, v1
	v_cvt_u32_f32_e32 v1, v1
	v_mov_b32_e32 v3, s23
	v_mov_b32_e32 v4, s24
	;; [unrolled: 1-line block ×3, first 2 shown]
	v_mul_lo_u32 v2, s0, v1
	v_mul_hi_u32 v2, v1, v2
	v_add_u32_e32 v1, v1, v2
	s_mov_b64 s[0:1], 0
	v_mov_b32_e32 v2, s11
.LBB1_5:                                ; =>This Inner Loop Header: Depth=1
	v_sub_u32_e32 v7, 0, v0
	v_max_i32_e32 v7, v0, v7
	v_mul_hi_u32 v8, v7, v1
	v_mul_lo_u32 v9, v8, s7
	v_sub_u32_e32 v7, v7, v9
	v_add_u32_e32 v10, 1, v8
	v_cmp_le_u32_e32 vcc, s7, v7
	v_subrev_u32_e32 v9, s7, v7
	v_cndmask_b32_e32 v8, v8, v10, vcc
	v_cndmask_b32_e32 v7, v7, v9, vcc
	v_ashrrev_i32_e32 v6, 31, v0
	v_add_u32_e32 v9, 1, v8
	v_cmp_le_u32_e32 vcc, s7, v7
	v_xor_b32_e32 v6, s3, v6
	v_cndmask_b32_e32 v7, v8, v9, vcc
	v_xor_b32_e32 v7, v7, v6
	v_sub_u32_e32 v7, v7, v6
	v_mul_lo_u32 v6, v7, s14
	v_mad_u64_u32 v[8:9], s[12:13], s10, v7, v[0:1]
	v_ashrrev_i32_e32 v7, 31, v6
	v_lshlrev_b64 v[6:7], 2, v[6:7]
	v_ashrrev_i32_e32 v9, 31, v8
	v_add_co_u32_e32 v12, vcc, s6, v6
	v_lshlrev_b64 v[8:9], 2, v[8:9]
	v_addc_co_u32_e32 v13, vcc, v2, v7, vcc
	v_add_co_u32_e32 v6, vcc, s15, v8
	v_addc_co_u32_e32 v7, vcc, v3, v9, vcc
	v_add_co_u32_e32 v10, vcc, s22, v8
	v_addc_co_u32_e32 v11, vcc, v4, v9, vcc
	global_load_dword v14, v[6:7], off
	global_load_dword v15, v[10:11], off
	v_add_co_u32_e32 v6, vcc, v12, v8
	v_addc_co_u32_e32 v7, vcc, v13, v9, vcc
	v_add_co_u32_e32 v8, vcc, s4, v6
	v_addc_co_u32_e32 v9, vcc, v7, v5, vcc
	global_load_dword v10, v[6:7], off
	global_load_dword v11, v[8:9], off
	v_add_u32_e32 v0, s9, v0
	v_cmp_le_i32_e32 vcc, s8, v0
	s_or_b64 s[0:1], vcc, s[0:1]
	s_waitcnt vmcnt(0)
	v_mul_f32_e32 v12, v15, v11
	v_mul_f32_e32 v11, v14, v11
	v_fma_f32 v12, v14, v10, -v12
	v_fmac_f32_e32 v11, v15, v10
	global_store_dword v[6:7], v12, off
	global_store_dword v[8:9], v11, off
	s_andn2_b64 exec, exec, s[0:1]
	s_cbranch_execnz .LBB1_5
.LBB1_6:
	s_endpgm
	.section	.rodata,"a",@progbits
	.p2align	6, 0x0
	.amdhsa_kernel _ZN4vllm23rotary_embedding_kernelIfLb1ELb1EEEvPKlPT_S4_PKS3_S6_illiii
		.amdhsa_group_segment_fixed_size 0
		.amdhsa_private_segment_fixed_size 0
		.amdhsa_kernarg_size 336
		.amdhsa_user_sgpr_count 6
		.amdhsa_user_sgpr_private_segment_buffer 1
		.amdhsa_user_sgpr_dispatch_ptr 0
		.amdhsa_user_sgpr_queue_ptr 0
		.amdhsa_user_sgpr_kernarg_segment_ptr 1
		.amdhsa_user_sgpr_dispatch_id 0
		.amdhsa_user_sgpr_flat_scratch_init 0
		.amdhsa_user_sgpr_kernarg_preload_length 0
		.amdhsa_user_sgpr_kernarg_preload_offset 0
		.amdhsa_user_sgpr_private_segment_size 0
		.amdhsa_uses_dynamic_stack 0
		.amdhsa_system_sgpr_private_segment_wavefront_offset 0
		.amdhsa_system_sgpr_workgroup_id_x 1
		.amdhsa_system_sgpr_workgroup_id_y 0
		.amdhsa_system_sgpr_workgroup_id_z 0
		.amdhsa_system_sgpr_workgroup_info 0
		.amdhsa_system_vgpr_workitem_id 0
		.amdhsa_next_free_vgpr 17
		.amdhsa_next_free_sgpr 32
		.amdhsa_accum_offset 20
		.amdhsa_reserve_vcc 1
		.amdhsa_reserve_flat_scratch 0
		.amdhsa_float_round_mode_32 0
		.amdhsa_float_round_mode_16_64 0
		.amdhsa_float_denorm_mode_32 3
		.amdhsa_float_denorm_mode_16_64 3
		.amdhsa_dx10_clamp 1
		.amdhsa_ieee_mode 1
		.amdhsa_fp16_overflow 0
		.amdhsa_tg_split 0
		.amdhsa_exception_fp_ieee_invalid_op 0
		.amdhsa_exception_fp_denorm_src 0
		.amdhsa_exception_fp_ieee_div_zero 0
		.amdhsa_exception_fp_ieee_overflow 0
		.amdhsa_exception_fp_ieee_underflow 0
		.amdhsa_exception_fp_ieee_inexact 0
		.amdhsa_exception_int_div_zero 0
	.end_amdhsa_kernel
	.section	.text._ZN4vllm23rotary_embedding_kernelIfLb1ELb1EEEvPKlPT_S4_PKS3_S6_illiii,"axG",@progbits,_ZN4vllm23rotary_embedding_kernelIfLb1ELb1EEEvPKlPT_S4_PKS3_S6_illiii,comdat
.Lfunc_end1:
	.size	_ZN4vllm23rotary_embedding_kernelIfLb1ELb1EEEvPKlPT_S4_PKS3_S6_illiii, .Lfunc_end1-_ZN4vllm23rotary_embedding_kernelIfLb1ELb1EEEvPKlPT_S4_PKS3_S6_illiii
                                        ; -- End function
	.section	.AMDGPU.csdata,"",@progbits
; Kernel info:
; codeLenInByte = 1000
; NumSgprs: 36
; NumVgprs: 17
; NumAgprs: 0
; TotalNumVgprs: 17
; ScratchSize: 0
; MemoryBound: 0
; FloatMode: 240
; IeeeMode: 1
; LDSByteSize: 0 bytes/workgroup (compile time only)
; SGPRBlocks: 4
; VGPRBlocks: 2
; NumSGPRsForWavesPerEU: 36
; NumVGPRsForWavesPerEU: 17
; AccumOffset: 20
; Occupancy: 8
; WaveLimiterHint : 1
; COMPUTE_PGM_RSRC2:SCRATCH_EN: 0
; COMPUTE_PGM_RSRC2:USER_SGPR: 6
; COMPUTE_PGM_RSRC2:TRAP_HANDLER: 0
; COMPUTE_PGM_RSRC2:TGID_X_EN: 1
; COMPUTE_PGM_RSRC2:TGID_Y_EN: 0
; COMPUTE_PGM_RSRC2:TGID_Z_EN: 0
; COMPUTE_PGM_RSRC2:TIDIG_COMP_CNT: 0
; COMPUTE_PGM_RSRC3_GFX90A:ACCUM_OFFSET: 4
; COMPUTE_PGM_RSRC3_GFX90A:TG_SPLIT: 0
	.section	.text._ZN4vllm23rotary_embedding_kernelIfLb1ELb0EEEvPKlPT_S4_PKS3_S6_illiii,"axG",@progbits,_ZN4vllm23rotary_embedding_kernelIfLb1ELb0EEEvPKlPT_S4_PKS3_S6_illiii,comdat
	.protected	_ZN4vllm23rotary_embedding_kernelIfLb1ELb0EEEvPKlPT_S4_PKS3_S6_illiii ; -- Begin function _ZN4vllm23rotary_embedding_kernelIfLb1ELb0EEEvPKlPT_S4_PKS3_S6_illiii
	.globl	_ZN4vllm23rotary_embedding_kernelIfLb1ELb0EEEvPKlPT_S4_PKS3_S6_illiii
	.p2align	8
	.type	_ZN4vllm23rotary_embedding_kernelIfLb1ELb0EEEvPKlPT_S4_PKS3_S6_illiii,@function
_ZN4vllm23rotary_embedding_kernelIfLb1ELb0EEEvPKlPT_S4_PKS3_S6_illiii: ; @_ZN4vllm23rotary_embedding_kernelIfLb1ELb0EEEvPKlPT_S4_PKS3_S6_illiii
; %bb.0:
	s_load_dword s24, s[4:5], 0x28
	s_load_dwordx2 s[8:9], s[4:5], 0x0
	s_load_dwordx4 s[0:3], s[4:5], 0x10
	s_ashr_i32 s7, s6, 31
	s_lshl_b64 s[10:11], s[6:7], 3
	s_waitcnt lgkmcnt(0)
	s_ashr_i32 s20, s24, 31
	s_add_u32 s16, s8, s10
	s_addc_u32 s17, s9, s11
	s_load_dwordx2 s[18:19], s[16:17], 0x0
	s_load_dwordx2 s[22:23], s[4:5], 0x20
	s_load_dwordx8 s[8:15], s[4:5], 0x30
	s_waitcnt lgkmcnt(0)
	s_mul_i32 s15, s18, s20
	s_mul_hi_u32 s16, s18, s24
	s_add_i32 s15, s16, s15
	s_mul_i32 s16, s19, s24
	s_add_i32 s15, s15, s16
	s_mul_i32 s16, s18, s24
	s_lshr_b32 s17, s15, 31
	s_add_u32 s16, s16, s17
	s_addc_u32 s17, s15, 0
	s_lshl_b64 s[16:17], s[16:17], 1
	s_and_b32 s16, s16, -4
	s_add_u32 s15, s2, s16
	s_addc_u32 s21, s3, s17
	s_add_u32 s20, s22, s16
	s_addc_u32 s22, s23, s17
	s_lshr_b32 s2, s24, 31
	s_add_i32 s24, s24, s2
	s_ashr_i32 s2, s24, 1
	s_mul_i32 s12, s2, s12
	v_cmp_gt_i32_e32 vcc, s12, v0
	s_and_saveexec_b64 s[16:17], vcc
	s_cbranch_execz .LBB2_3
; %bb.1:
	s_load_dwordx2 s[18:19], s[4:5], 0x8
	s_mul_i32 s3, s6, s9
	s_mul_hi_u32 s9, s6, s8
	s_add_i32 s3, s9, s3
	s_mul_i32 s9, s7, s8
	s_add_i32 s9, s3, s9
	s_load_dword s3, s[4:5], 0x5c
	s_mul_i32 s8, s6, s8
	s_lshl_b64 s[8:9], s[8:9], 2
	s_waitcnt lgkmcnt(0)
	s_add_u32 s23, s18, s8
	s_addc_u32 s18, s19, s9
	s_abs_i32 s24, s2
	v_cvt_f32_u32_e32 v1, s24
	s_sub_i32 s8, 0, s24
	s_and_b32 s25, s3, 0xffff
	s_ashr_i32 s3, s2, 31
	v_rcp_iflag_f32_e32 v1, v1
	v_mov_b32_e32 v3, s18
	s_lshl_b64 s[18:19], s[2:3], 2
	s_sub_i32 s26, 0, s2
	v_mul_f32_e32 v1, 0x4f7ffffe, v1
	v_cvt_u32_f32_e32 v1, v1
	v_mov_b32_e32 v4, s21
	v_mov_b32_e32 v5, s22
	;; [unrolled: 1-line block ×3, first 2 shown]
	v_mul_lo_u32 v2, s8, v1
	v_mul_hi_u32 v2, v1, v2
	v_add_u32_e32 v1, v1, v2
	s_mov_b64 s[8:9], 0
	v_mov_b32_e32 v2, v0
.LBB2_2:                                ; =>This Inner Loop Header: Depth=1
	v_sub_u32_e32 v8, 0, v2
	v_max_i32_e32 v8, v2, v8
	v_mul_hi_u32 v9, v8, v1
	v_mul_lo_u32 v10, v9, s24
	v_sub_u32_e32 v8, v8, v10
	v_add_u32_e32 v11, 1, v9
	v_cmp_le_u32_e32 vcc, s24, v8
	v_subrev_u32_e32 v10, s24, v8
	v_cndmask_b32_e32 v9, v9, v11, vcc
	v_cndmask_b32_e32 v8, v8, v10, vcc
	v_ashrrev_i32_e32 v7, 31, v2
	v_add_u32_e32 v10, 1, v9
	v_cmp_le_u32_e32 vcc, s24, v8
	v_xor_b32_e32 v7, s3, v7
	v_cndmask_b32_e32 v8, v9, v10, vcc
	v_xor_b32_e32 v8, v8, v7
	v_sub_u32_e32 v7, v8, v7
	v_mul_lo_u32 v8, v7, s14
	v_ashrrev_i32_e32 v9, 31, v8
	v_mad_u64_u32 v[10:11], s[28:29], s26, v7, v[2:3]
	v_lshlrev_b64 v[8:9], 2, v[8:9]
	v_ashrrev_i32_e32 v11, 31, v10
	v_add_co_u32_e32 v7, vcc, s23, v8
	v_lshlrev_b64 v[10:11], 2, v[10:11]
	v_addc_co_u32_e32 v14, vcc, v3, v9, vcc
	v_add_co_u32_e32 v8, vcc, s15, v10
	v_addc_co_u32_e32 v9, vcc, v4, v11, vcc
	v_add_co_u32_e32 v12, vcc, s20, v10
	v_addc_co_u32_e32 v13, vcc, v5, v11, vcc
	global_load_dword v15, v[8:9], off
	global_load_dword v16, v[12:13], off
	v_add_co_u32_e32 v8, vcc, v7, v10
	v_addc_co_u32_e32 v9, vcc, v14, v11, vcc
	v_add_co_u32_e32 v10, vcc, s18, v8
	v_addc_co_u32_e32 v11, vcc, v9, v6, vcc
	global_load_dword v7, v[8:9], off
	global_load_dword v12, v[10:11], off
	v_add_u32_e32 v2, s25, v2
	v_cmp_le_i32_e32 vcc, s12, v2
	s_or_b64 s[8:9], vcc, s[8:9]
	s_waitcnt vmcnt(0)
	v_mul_f32_e32 v13, v16, v12
	v_mul_f32_e32 v12, v15, v12
	v_fma_f32 v13, v15, v7, -v13
	v_fmac_f32_e32 v12, v16, v7
	global_store_dword v[8:9], v13, off
	global_store_dword v[10:11], v12, off
	s_andn2_b64 exec, exec, s[8:9]
	s_cbranch_execnz .LBB2_2
.LBB2_3:
	s_or_b64 exec, exec, s[16:17]
	s_mul_i32 s8, s2, s13
	v_cmp_gt_i32_e32 vcc, s8, v0
	s_and_saveexec_b64 s[12:13], vcc
	s_cbranch_execz .LBB2_6
; %bb.4:
	s_mul_i32 s3, s6, s11
	s_mul_hi_u32 s9, s6, s10
	s_add_i32 s3, s9, s3
	s_mul_i32 s7, s7, s10
	s_add_i32 s7, s3, s7
	s_mul_i32 s6, s6, s10
	s_lshl_b64 s[6:7], s[6:7], 2
	s_add_u32 s6, s0, s6
	s_addc_u32 s11, s1, s7
	s_abs_i32 s7, s2
	v_cvt_f32_u32_e32 v1, s7
	s_load_dword s0, s[4:5], 0x5c
	s_ashr_i32 s3, s2, 31
	s_lshl_b64 s[4:5], s[2:3], 2
	v_rcp_iflag_f32_e32 v1, v1
	s_sub_i32 s10, 0, s2
	s_waitcnt lgkmcnt(0)
	s_and_b32 s9, s0, 0xffff
	s_sub_i32 s0, 0, s7
	v_mul_f32_e32 v1, 0x4f7ffffe, v1
	v_cvt_u32_f32_e32 v1, v1
	v_mov_b32_e32 v3, s21
	v_mov_b32_e32 v4, s22
	;; [unrolled: 1-line block ×3, first 2 shown]
	v_mul_lo_u32 v2, s0, v1
	v_mul_hi_u32 v2, v1, v2
	v_add_u32_e32 v1, v1, v2
	s_mov_b64 s[0:1], 0
	v_mov_b32_e32 v2, s11
.LBB2_5:                                ; =>This Inner Loop Header: Depth=1
	v_sub_u32_e32 v7, 0, v0
	v_max_i32_e32 v7, v0, v7
	v_mul_hi_u32 v8, v7, v1
	v_mul_lo_u32 v9, v8, s7
	v_sub_u32_e32 v7, v7, v9
	v_add_u32_e32 v10, 1, v8
	v_cmp_le_u32_e32 vcc, s7, v7
	v_subrev_u32_e32 v9, s7, v7
	v_cndmask_b32_e32 v8, v8, v10, vcc
	v_cndmask_b32_e32 v7, v7, v9, vcc
	v_ashrrev_i32_e32 v6, 31, v0
	v_add_u32_e32 v9, 1, v8
	v_cmp_le_u32_e32 vcc, s7, v7
	v_xor_b32_e32 v6, s3, v6
	v_cndmask_b32_e32 v7, v8, v9, vcc
	v_xor_b32_e32 v7, v7, v6
	v_sub_u32_e32 v7, v7, v6
	v_mul_lo_u32 v6, v7, s14
	v_mad_u64_u32 v[8:9], s[12:13], s10, v7, v[0:1]
	v_ashrrev_i32_e32 v7, 31, v6
	v_lshlrev_b64 v[6:7], 2, v[6:7]
	v_ashrrev_i32_e32 v9, 31, v8
	v_add_co_u32_e32 v12, vcc, s6, v6
	v_lshlrev_b64 v[8:9], 2, v[8:9]
	v_addc_co_u32_e32 v13, vcc, v2, v7, vcc
	v_add_co_u32_e32 v6, vcc, s15, v8
	v_addc_co_u32_e32 v7, vcc, v3, v9, vcc
	v_add_co_u32_e32 v10, vcc, s20, v8
	v_addc_co_u32_e32 v11, vcc, v4, v9, vcc
	global_load_dword v14, v[6:7], off
	global_load_dword v15, v[10:11], off
	v_add_co_u32_e32 v6, vcc, v12, v8
	v_addc_co_u32_e32 v7, vcc, v13, v9, vcc
	v_add_co_u32_e32 v8, vcc, s4, v6
	v_addc_co_u32_e32 v9, vcc, v7, v5, vcc
	global_load_dword v10, v[6:7], off
	global_load_dword v11, v[8:9], off
	v_add_u32_e32 v0, s9, v0
	v_cmp_le_i32_e32 vcc, s8, v0
	s_or_b64 s[0:1], vcc, s[0:1]
	s_waitcnt vmcnt(0)
	v_mul_f32_e32 v12, v15, v11
	v_mul_f32_e32 v11, v14, v11
	v_fma_f32 v12, v14, v10, -v12
	v_fmac_f32_e32 v11, v15, v10
	global_store_dword v[6:7], v12, off
	global_store_dword v[8:9], v11, off
	s_andn2_b64 exec, exec, s[0:1]
	s_cbranch_execnz .LBB2_5
.LBB2_6:
	s_endpgm
	.section	.rodata,"a",@progbits
	.p2align	6, 0x0
	.amdhsa_kernel _ZN4vllm23rotary_embedding_kernelIfLb1ELb0EEEvPKlPT_S4_PKS3_S6_illiii
		.amdhsa_group_segment_fixed_size 0
		.amdhsa_private_segment_fixed_size 0
		.amdhsa_kernarg_size 336
		.amdhsa_user_sgpr_count 6
		.amdhsa_user_sgpr_private_segment_buffer 1
		.amdhsa_user_sgpr_dispatch_ptr 0
		.amdhsa_user_sgpr_queue_ptr 0
		.amdhsa_user_sgpr_kernarg_segment_ptr 1
		.amdhsa_user_sgpr_dispatch_id 0
		.amdhsa_user_sgpr_flat_scratch_init 0
		.amdhsa_user_sgpr_kernarg_preload_length 0
		.amdhsa_user_sgpr_kernarg_preload_offset 0
		.amdhsa_user_sgpr_private_segment_size 0
		.amdhsa_uses_dynamic_stack 0
		.amdhsa_system_sgpr_private_segment_wavefront_offset 0
		.amdhsa_system_sgpr_workgroup_id_x 1
		.amdhsa_system_sgpr_workgroup_id_y 0
		.amdhsa_system_sgpr_workgroup_id_z 0
		.amdhsa_system_sgpr_workgroup_info 0
		.amdhsa_system_vgpr_workitem_id 0
		.amdhsa_next_free_vgpr 17
		.amdhsa_next_free_sgpr 30
		.amdhsa_accum_offset 20
		.amdhsa_reserve_vcc 1
		.amdhsa_reserve_flat_scratch 0
		.amdhsa_float_round_mode_32 0
		.amdhsa_float_round_mode_16_64 0
		.amdhsa_float_denorm_mode_32 3
		.amdhsa_float_denorm_mode_16_64 3
		.amdhsa_dx10_clamp 1
		.amdhsa_ieee_mode 1
		.amdhsa_fp16_overflow 0
		.amdhsa_tg_split 0
		.amdhsa_exception_fp_ieee_invalid_op 0
		.amdhsa_exception_fp_denorm_src 0
		.amdhsa_exception_fp_ieee_div_zero 0
		.amdhsa_exception_fp_ieee_overflow 0
		.amdhsa_exception_fp_ieee_underflow 0
		.amdhsa_exception_fp_ieee_inexact 0
		.amdhsa_exception_int_div_zero 0
	.end_amdhsa_kernel
	.section	.text._ZN4vllm23rotary_embedding_kernelIfLb1ELb0EEEvPKlPT_S4_PKS3_S6_illiii,"axG",@progbits,_ZN4vllm23rotary_embedding_kernelIfLb1ELb0EEEvPKlPT_S4_PKS3_S6_illiii,comdat
.Lfunc_end2:
	.size	_ZN4vllm23rotary_embedding_kernelIfLb1ELb0EEEvPKlPT_S4_PKS3_S6_illiii, .Lfunc_end2-_ZN4vllm23rotary_embedding_kernelIfLb1ELb0EEEvPKlPT_S4_PKS3_S6_illiii
                                        ; -- End function
	.section	.AMDGPU.csdata,"",@progbits
; Kernel info:
; codeLenInByte = 968
; NumSgprs: 34
; NumVgprs: 17
; NumAgprs: 0
; TotalNumVgprs: 17
; ScratchSize: 0
; MemoryBound: 0
; FloatMode: 240
; IeeeMode: 1
; LDSByteSize: 0 bytes/workgroup (compile time only)
; SGPRBlocks: 4
; VGPRBlocks: 2
; NumSGPRsForWavesPerEU: 34
; NumVGPRsForWavesPerEU: 17
; AccumOffset: 20
; Occupancy: 8
; WaveLimiterHint : 1
; COMPUTE_PGM_RSRC2:SCRATCH_EN: 0
; COMPUTE_PGM_RSRC2:USER_SGPR: 6
; COMPUTE_PGM_RSRC2:TRAP_HANDLER: 0
; COMPUTE_PGM_RSRC2:TGID_X_EN: 1
; COMPUTE_PGM_RSRC2:TGID_Y_EN: 0
; COMPUTE_PGM_RSRC2:TGID_Z_EN: 0
; COMPUTE_PGM_RSRC2:TIDIG_COMP_CNT: 0
; COMPUTE_PGM_RSRC3_GFX90A:ACCUM_OFFSET: 4
; COMPUTE_PGM_RSRC3_GFX90A:TG_SPLIT: 0
	.section	.text._ZN4vllm23rotary_embedding_kernelIfLb0ELb1EEEvPKlPT_S4_PKS3_S6_illiii,"axG",@progbits,_ZN4vllm23rotary_embedding_kernelIfLb0ELb1EEEvPKlPT_S4_PKS3_S6_illiii,comdat
	.protected	_ZN4vllm23rotary_embedding_kernelIfLb0ELb1EEEvPKlPT_S4_PKS3_S6_illiii ; -- Begin function _ZN4vllm23rotary_embedding_kernelIfLb0ELb1EEEvPKlPT_S4_PKS3_S6_illiii
	.globl	_ZN4vllm23rotary_embedding_kernelIfLb0ELb1EEEvPKlPT_S4_PKS3_S6_illiii
	.p2align	8
	.type	_ZN4vllm23rotary_embedding_kernelIfLb0ELb1EEEvPKlPT_S4_PKS3_S6_illiii,@function
_ZN4vllm23rotary_embedding_kernelIfLb0ELb1EEEvPKlPT_S4_PKS3_S6_illiii: ; @_ZN4vllm23rotary_embedding_kernelIfLb0ELb1EEEvPKlPT_S4_PKS3_S6_illiii
; %bb.0:
	s_load_dword s22, s[4:5], 0x28
	s_load_dwordx2 s[8:9], s[4:5], 0x0
	s_load_dwordx4 s[0:3], s[4:5], 0x10
	s_ashr_i32 s7, s6, 31
	s_lshl_b64 s[10:11], s[6:7], 3
	s_waitcnt lgkmcnt(0)
	s_ashr_i32 s23, s22, 31
	s_add_u32 s16, s8, s10
	s_addc_u32 s17, s9, s11
	s_load_dwordx2 s[18:19], s[16:17], 0x0
	s_load_dwordx2 s[20:21], s[4:5], 0x20
	s_load_dwordx8 s[8:15], s[4:5], 0x30
	v_lshlrev_b32_e32 v2, 1, v0
	s_waitcnt lgkmcnt(0)
	s_mul_i32 s15, s18, s23
	s_mul_hi_u32 s16, s18, s22
	s_add_i32 s15, s16, s15
	s_mul_i32 s16, s19, s22
	s_add_i32 s15, s15, s16
	s_mul_i32 s16, s18, s22
	s_lshr_b32 s17, s15, 31
	s_add_u32 s16, s16, s17
	s_addc_u32 s17, s15, 0
	s_lshl_b64 s[16:17], s[16:17], 1
	s_and_b32 s16, s16, -4
	s_add_u32 s15, s2, s16
	s_addc_u32 s19, s3, s17
	s_add_u32 s18, s20, s16
	s_addc_u32 s20, s21, s17
	s_lshr_b32 s2, s22, 31
	s_add_i32 s2, s22, s2
	s_ashr_i32 s21, s2, 1
	s_mul_i32 s12, s21, s12
	s_sub_i32 s2, s14, s22
	s_ashr_i32 s3, s2, 31
	v_cmp_gt_i32_e32 vcc, s12, v0
	s_and_saveexec_b64 s[16:17], vcc
	s_cbranch_execz .LBB3_3
; %bb.1:
	s_load_dwordx2 s[22:23], s[4:5], 0x8
	s_load_dword s27, s[4:5], 0x5c
	s_lshl_b64 s[24:25], s[2:3], 2
	s_mul_i32 s9, s6, s9
	s_mul_hi_u32 s26, s6, s8
	s_waitcnt lgkmcnt(0)
	s_add_u32 s22, s22, s24
	s_addc_u32 s23, s23, s25
	s_add_i32 s9, s26, s9
	s_mul_i32 s24, s7, s8
	s_add_i32 s9, s9, s24
	s_mul_i32 s8, s6, s8
	s_lshl_b64 s[8:9], s[8:9], 2
	s_add_u32 s22, s22, s8
	s_addc_u32 s29, s23, s9
	s_abs_i32 s23, s21
	v_cvt_f32_u32_e32 v1, s23
	s_sub_i32 s9, 0, s23
	s_and_b32 s24, s27, 0xffff
	s_lshl_b32 s8, s21, 1
	v_rcp_iflag_f32_e32 v1, v1
	s_ashr_i32 s25, s21, 31
	s_sub_i32 s26, 0, s8
	v_lshlrev_b32_e32 v4, 1, v0
	v_mul_f32_e32 v1, 0x4f7ffffe, v1
	v_cvt_u32_f32_e32 v1, v1
	s_lshl_b32 s27, s24, 1
	s_sub_i32 s28, 0, s21
	v_mov_b32_e32 v5, s19
	v_mul_lo_u32 v3, s9, v1
	v_mul_hi_u32 v3, v1, v3
	v_add_u32_e32 v1, v1, v3
	s_mov_b64 s[8:9], 0
	v_mov_b32_e32 v3, s29
	v_mov_b32_e32 v7, s20
	;; [unrolled: 1-line block ×3, first 2 shown]
.LBB3_2:                                ; =>This Inner Loop Header: Depth=1
	v_sub_u32_e32 v9, 0, v6
	v_max_i32_e32 v9, v6, v9
	v_mul_hi_u32 v10, v9, v1
	v_mul_lo_u32 v11, v10, s23
	v_sub_u32_e32 v9, v9, v11
	v_add_u32_e32 v12, 1, v10
	v_cmp_le_u32_e32 vcc, s23, v9
	v_subrev_u32_e32 v11, s23, v9
	v_cndmask_b32_e32 v10, v10, v12, vcc
	v_cndmask_b32_e32 v9, v9, v11, vcc
	v_ashrrev_i32_e32 v8, 31, v6
	v_add_u32_e32 v11, 1, v10
	v_cmp_le_u32_e32 vcc, s23, v9
	v_xor_b32_e32 v8, s25, v8
	v_cndmask_b32_e32 v9, v10, v11, vcc
	v_xor_b32_e32 v9, v9, v8
	v_sub_u32_e32 v9, v9, v8
	v_mul_lo_u32 v8, v9, s14
	v_mad_u64_u32 v[10:11], s[30:31], s28, v9, v[6:7]
	v_mad_u64_u32 v[12:13], s[30:31], s26, v9, v[4:5]
	v_ashrrev_i32_e32 v9, 31, v8
	v_lshlrev_b64 v[8:9], 2, v[8:9]
	v_ashrrev_i32_e32 v11, 31, v10
	v_add_co_u32_e32 v14, vcc, s22, v8
	v_lshlrev_b64 v[10:11], 2, v[10:11]
	v_addc_co_u32_e32 v15, vcc, v3, v9, vcc
	v_add_co_u32_e32 v8, vcc, s15, v10
	v_addc_co_u32_e32 v9, vcc, v5, v11, vcc
	v_ashrrev_i32_e32 v13, 31, v12
	v_add_co_u32_e32 v10, vcc, s18, v10
	v_lshlrev_b64 v[12:13], 2, v[12:13]
	v_addc_co_u32_e32 v11, vcc, v7, v11, vcc
	global_load_dword v16, v[8:9], off
	global_load_dword v17, v[10:11], off
	v_add_co_u32_e32 v8, vcc, v14, v12
	v_addc_co_u32_e32 v9, vcc, v15, v13, vcc
	global_load_dwordx2 v[10:11], v[8:9], off
	v_add_u32_e32 v6, s24, v6
	v_cmp_le_i32_e32 vcc, s12, v6
	v_add_u32_e32 v4, s27, v4
	s_or_b64 s[8:9], vcc, s[8:9]
	s_waitcnt vmcnt(0)
	v_mul_f32_e32 v12, v17, v11
	v_mul_f32_e32 v13, v16, v11
	v_fma_f32 v12, v16, v10, -v12
	v_fmac_f32_e32 v13, v17, v10
	global_store_dwordx2 v[8:9], v[12:13], off
	s_andn2_b64 exec, exec, s[8:9]
	s_cbranch_execnz .LBB3_2
.LBB3_3:
	s_or_b64 exec, exec, s[16:17]
	s_mul_i32 s8, s21, s13
	v_cmp_gt_i32_e32 vcc, s8, v0
	s_and_saveexec_b64 s[12:13], vcc
	s_cbranch_execz .LBB3_6
; %bb.4:
	s_lshl_b64 s[2:3], s[2:3], 2
	s_add_u32 s2, s0, s2
	s_addc_u32 s3, s1, s3
	s_mul_i32 s0, s6, s11
	s_mul_hi_u32 s1, s6, s10
	s_add_i32 s0, s1, s0
	s_mul_i32 s1, s7, s10
	s_add_i32 s1, s0, s1
	s_mul_i32 s0, s6, s10
	s_lshl_b64 s[0:1], s[0:1], 2
	s_add_u32 s2, s2, s0
	s_addc_u32 s10, s3, s1
	s_abs_i32 s3, s21
	v_cvt_f32_u32_e32 v1, s3
	s_load_dword s0, s[4:5], 0x5c
	s_ashr_i32 s5, s21, 31
	s_sub_i32 s9, 0, s21
	v_rcp_iflag_f32_e32 v1, v1
	v_mov_b32_e32 v4, s19
	s_waitcnt lgkmcnt(0)
	s_and_b32 s4, s0, 0xffff
	s_sub_i32 s0, 0, s3
	v_mul_f32_e32 v1, 0x4f7ffffe, v1
	v_cvt_u32_f32_e32 v1, v1
	s_lshl_b32 s7, s4, 1
	v_mov_b32_e32 v5, s20
	v_mul_lo_u32 v3, s0, v1
	v_mul_hi_u32 v3, v1, v3
	s_lshl_b32 s0, s21, 1
	v_add_u32_e32 v1, v1, v3
	s_sub_i32 s6, 0, s0
	s_mov_b64 s[0:1], 0
	v_mov_b32_e32 v3, s10
.LBB3_5:                                ; =>This Inner Loop Header: Depth=1
	v_sub_u32_e32 v7, 0, v0
	v_max_i32_e32 v7, v0, v7
	v_mul_hi_u32 v8, v7, v1
	v_mul_lo_u32 v9, v8, s3
	v_sub_u32_e32 v7, v7, v9
	v_add_u32_e32 v10, 1, v8
	v_cmp_le_u32_e32 vcc, s3, v7
	v_subrev_u32_e32 v9, s3, v7
	v_cndmask_b32_e32 v8, v8, v10, vcc
	v_cndmask_b32_e32 v7, v7, v9, vcc
	v_ashrrev_i32_e32 v6, 31, v0
	v_add_u32_e32 v9, 1, v8
	v_cmp_le_u32_e32 vcc, s3, v7
	v_xor_b32_e32 v6, s5, v6
	v_cndmask_b32_e32 v7, v8, v9, vcc
	v_xor_b32_e32 v7, v7, v6
	v_sub_u32_e32 v7, v7, v6
	v_mul_lo_u32 v6, v7, s14
	v_mad_u64_u32 v[8:9], s[10:11], s9, v7, v[0:1]
	v_mad_u64_u32 v[10:11], s[10:11], s6, v7, v[2:3]
	v_ashrrev_i32_e32 v7, 31, v6
	v_lshlrev_b64 v[6:7], 2, v[6:7]
	v_ashrrev_i32_e32 v9, 31, v8
	v_add_co_u32_e32 v12, vcc, s2, v6
	v_lshlrev_b64 v[8:9], 2, v[8:9]
	v_addc_co_u32_e32 v13, vcc, v3, v7, vcc
	v_add_co_u32_e32 v6, vcc, s15, v8
	v_addc_co_u32_e32 v7, vcc, v4, v9, vcc
	v_ashrrev_i32_e32 v11, 31, v10
	v_add_co_u32_e32 v8, vcc, s18, v8
	v_lshlrev_b64 v[10:11], 2, v[10:11]
	v_addc_co_u32_e32 v9, vcc, v5, v9, vcc
	global_load_dword v14, v[6:7], off
	global_load_dword v15, v[8:9], off
	v_add_co_u32_e32 v6, vcc, v12, v10
	v_addc_co_u32_e32 v7, vcc, v13, v11, vcc
	global_load_dwordx2 v[8:9], v[6:7], off
	v_add_u32_e32 v0, s4, v0
	v_cmp_le_i32_e32 vcc, s8, v0
	v_add_u32_e32 v2, s7, v2
	s_or_b64 s[0:1], vcc, s[0:1]
	s_waitcnt vmcnt(0)
	v_mul_f32_e32 v10, v15, v9
	v_mul_f32_e32 v11, v14, v9
	v_fma_f32 v10, v14, v8, -v10
	v_fmac_f32_e32 v11, v15, v8
	global_store_dwordx2 v[6:7], v[10:11], off
	s_andn2_b64 exec, exec, s[0:1]
	s_cbranch_execnz .LBB3_5
.LBB3_6:
	s_endpgm
	.section	.rodata,"a",@progbits
	.p2align	6, 0x0
	.amdhsa_kernel _ZN4vllm23rotary_embedding_kernelIfLb0ELb1EEEvPKlPT_S4_PKS3_S6_illiii
		.amdhsa_group_segment_fixed_size 0
		.amdhsa_private_segment_fixed_size 0
		.amdhsa_kernarg_size 336
		.amdhsa_user_sgpr_count 6
		.amdhsa_user_sgpr_private_segment_buffer 1
		.amdhsa_user_sgpr_dispatch_ptr 0
		.amdhsa_user_sgpr_queue_ptr 0
		.amdhsa_user_sgpr_kernarg_segment_ptr 1
		.amdhsa_user_sgpr_dispatch_id 0
		.amdhsa_user_sgpr_flat_scratch_init 0
		.amdhsa_user_sgpr_kernarg_preload_length 0
		.amdhsa_user_sgpr_kernarg_preload_offset 0
		.amdhsa_user_sgpr_private_segment_size 0
		.amdhsa_uses_dynamic_stack 0
		.amdhsa_system_sgpr_private_segment_wavefront_offset 0
		.amdhsa_system_sgpr_workgroup_id_x 1
		.amdhsa_system_sgpr_workgroup_id_y 0
		.amdhsa_system_sgpr_workgroup_id_z 0
		.amdhsa_system_sgpr_workgroup_info 0
		.amdhsa_system_vgpr_workitem_id 0
		.amdhsa_next_free_vgpr 18
		.amdhsa_next_free_sgpr 32
		.amdhsa_accum_offset 20
		.amdhsa_reserve_vcc 1
		.amdhsa_reserve_flat_scratch 0
		.amdhsa_float_round_mode_32 0
		.amdhsa_float_round_mode_16_64 0
		.amdhsa_float_denorm_mode_32 3
		.amdhsa_float_denorm_mode_16_64 3
		.amdhsa_dx10_clamp 1
		.amdhsa_ieee_mode 1
		.amdhsa_fp16_overflow 0
		.amdhsa_tg_split 0
		.amdhsa_exception_fp_ieee_invalid_op 0
		.amdhsa_exception_fp_denorm_src 0
		.amdhsa_exception_fp_ieee_div_zero 0
		.amdhsa_exception_fp_ieee_overflow 0
		.amdhsa_exception_fp_ieee_underflow 0
		.amdhsa_exception_fp_ieee_inexact 0
		.amdhsa_exception_int_div_zero 0
	.end_amdhsa_kernel
	.section	.text._ZN4vllm23rotary_embedding_kernelIfLb0ELb1EEEvPKlPT_S4_PKS3_S6_illiii,"axG",@progbits,_ZN4vllm23rotary_embedding_kernelIfLb0ELb1EEEvPKlPT_S4_PKS3_S6_illiii,comdat
.Lfunc_end3:
	.size	_ZN4vllm23rotary_embedding_kernelIfLb0ELb1EEEvPKlPT_S4_PKS3_S6_illiii, .Lfunc_end3-_ZN4vllm23rotary_embedding_kernelIfLb0ELb1EEEvPKlPT_S4_PKS3_S6_illiii
                                        ; -- End function
	.section	.AMDGPU.csdata,"",@progbits
; Kernel info:
; codeLenInByte = 1016
; NumSgprs: 36
; NumVgprs: 18
; NumAgprs: 0
; TotalNumVgprs: 18
; ScratchSize: 0
; MemoryBound: 0
; FloatMode: 240
; IeeeMode: 1
; LDSByteSize: 0 bytes/workgroup (compile time only)
; SGPRBlocks: 4
; VGPRBlocks: 2
; NumSGPRsForWavesPerEU: 36
; NumVGPRsForWavesPerEU: 18
; AccumOffset: 20
; Occupancy: 8
; WaveLimiterHint : 1
; COMPUTE_PGM_RSRC2:SCRATCH_EN: 0
; COMPUTE_PGM_RSRC2:USER_SGPR: 6
; COMPUTE_PGM_RSRC2:TRAP_HANDLER: 0
; COMPUTE_PGM_RSRC2:TGID_X_EN: 1
; COMPUTE_PGM_RSRC2:TGID_Y_EN: 0
; COMPUTE_PGM_RSRC2:TGID_Z_EN: 0
; COMPUTE_PGM_RSRC2:TIDIG_COMP_CNT: 0
; COMPUTE_PGM_RSRC3_GFX90A:ACCUM_OFFSET: 4
; COMPUTE_PGM_RSRC3_GFX90A:TG_SPLIT: 0
	.section	.text._ZN4vllm23rotary_embedding_kernelIfLb0ELb0EEEvPKlPT_S4_PKS3_S6_illiii,"axG",@progbits,_ZN4vllm23rotary_embedding_kernelIfLb0ELb0EEEvPKlPT_S4_PKS3_S6_illiii,comdat
	.protected	_ZN4vllm23rotary_embedding_kernelIfLb0ELb0EEEvPKlPT_S4_PKS3_S6_illiii ; -- Begin function _ZN4vllm23rotary_embedding_kernelIfLb0ELb0EEEvPKlPT_S4_PKS3_S6_illiii
	.globl	_ZN4vllm23rotary_embedding_kernelIfLb0ELb0EEEvPKlPT_S4_PKS3_S6_illiii
	.p2align	8
	.type	_ZN4vllm23rotary_embedding_kernelIfLb0ELb0EEEvPKlPT_S4_PKS3_S6_illiii,@function
_ZN4vllm23rotary_embedding_kernelIfLb0ELb0EEEvPKlPT_S4_PKS3_S6_illiii: ; @_ZN4vllm23rotary_embedding_kernelIfLb0ELb0EEEvPKlPT_S4_PKS3_S6_illiii
; %bb.0:
	s_load_dword s22, s[4:5], 0x28
	s_load_dwordx2 s[8:9], s[4:5], 0x0
	s_load_dwordx4 s[0:3], s[4:5], 0x10
	s_ashr_i32 s7, s6, 31
	s_lshl_b64 s[10:11], s[6:7], 3
	s_waitcnt lgkmcnt(0)
	s_ashr_i32 s23, s22, 31
	s_add_u32 s16, s8, s10
	s_addc_u32 s17, s9, s11
	s_load_dwordx2 s[18:19], s[16:17], 0x0
	s_load_dwordx2 s[20:21], s[4:5], 0x20
	s_load_dwordx8 s[8:15], s[4:5], 0x30
	v_lshlrev_b32_e32 v2, 1, v0
	s_waitcnt lgkmcnt(0)
	s_mul_i32 s15, s18, s23
	s_mul_hi_u32 s16, s18, s22
	s_add_i32 s15, s16, s15
	s_mul_i32 s16, s19, s22
	s_add_i32 s15, s15, s16
	s_mul_i32 s16, s18, s22
	s_lshr_b32 s17, s15, 31
	s_add_u32 s16, s16, s17
	s_addc_u32 s17, s15, 0
	s_lshl_b64 s[18:19], s[16:17], 1
	s_and_b32 s16, s18, -4
	s_add_u32 s15, s2, s16
	s_addc_u32 s17, s3, s19
	s_add_u32 s16, s20, s16
	s_addc_u32 s18, s21, s19
	s_lshr_b32 s2, s22, 31
	s_add_i32 s22, s22, s2
	s_ashr_i32 s19, s22, 1
	s_mul_i32 s12, s19, s12
	v_cmp_gt_i32_e32 vcc, s12, v0
	s_and_saveexec_b64 s[2:3], vcc
	s_cbranch_execz .LBB4_3
; %bb.1:
	s_mul_i32 s9, s6, s9
	s_mul_hi_u32 s20, s6, s8
	s_add_i32 s9, s20, s9
	s_load_dwordx2 s[20:21], s[4:5], 0x8
	s_mul_i32 s22, s7, s8
	s_add_i32 s9, s9, s22
	s_load_dword s22, s[4:5], 0x5c
	s_mul_i32 s8, s6, s8
	s_lshl_b64 s[8:9], s[8:9], 2
	s_waitcnt lgkmcnt(0)
	s_add_u32 s20, s20, s8
	s_addc_u32 s27, s21, s9
	s_abs_i32 s21, s19
	v_cvt_f32_u32_e32 v1, s21
	s_sub_i32 s9, 0, s21
	s_and_b32 s22, s22, 0xffff
	s_lshl_b32 s8, s19, 1
	v_rcp_iflag_f32_e32 v1, v1
	s_ashr_i32 s23, s19, 31
	s_sub_i32 s24, 0, s8
	v_lshlrev_b32_e32 v4, 1, v0
	v_mul_f32_e32 v1, 0x4f7ffffe, v1
	v_cvt_u32_f32_e32 v1, v1
	s_lshl_b32 s25, s22, 1
	s_sub_i32 s26, 0, s19
	v_mov_b32_e32 v5, s17
	v_mul_lo_u32 v3, s9, v1
	v_mul_hi_u32 v3, v1, v3
	v_add_u32_e32 v1, v1, v3
	s_mov_b64 s[8:9], 0
	v_mov_b32_e32 v3, s27
	v_mov_b32_e32 v7, s18
	v_mov_b32_e32 v6, v0
.LBB4_2:                                ; =>This Inner Loop Header: Depth=1
	v_sub_u32_e32 v9, 0, v6
	v_max_i32_e32 v9, v6, v9
	v_mul_hi_u32 v10, v9, v1
	v_mul_lo_u32 v11, v10, s21
	v_sub_u32_e32 v9, v9, v11
	v_add_u32_e32 v12, 1, v10
	v_cmp_le_u32_e32 vcc, s21, v9
	v_subrev_u32_e32 v11, s21, v9
	v_cndmask_b32_e32 v10, v10, v12, vcc
	v_cndmask_b32_e32 v9, v9, v11, vcc
	v_ashrrev_i32_e32 v8, 31, v6
	v_add_u32_e32 v11, 1, v10
	v_cmp_le_u32_e32 vcc, s21, v9
	v_xor_b32_e32 v8, s23, v8
	v_cndmask_b32_e32 v9, v10, v11, vcc
	v_xor_b32_e32 v9, v9, v8
	v_sub_u32_e32 v9, v9, v8
	v_mul_lo_u32 v8, v9, s14
	v_mad_u64_u32 v[10:11], s[28:29], s26, v9, v[6:7]
	v_mad_u64_u32 v[12:13], s[28:29], s24, v9, v[4:5]
	v_ashrrev_i32_e32 v9, 31, v8
	v_lshlrev_b64 v[8:9], 2, v[8:9]
	v_ashrrev_i32_e32 v11, 31, v10
	v_add_co_u32_e32 v14, vcc, s20, v8
	v_lshlrev_b64 v[10:11], 2, v[10:11]
	v_addc_co_u32_e32 v15, vcc, v3, v9, vcc
	v_add_co_u32_e32 v8, vcc, s15, v10
	v_addc_co_u32_e32 v9, vcc, v5, v11, vcc
	v_ashrrev_i32_e32 v13, 31, v12
	v_add_co_u32_e32 v10, vcc, s16, v10
	v_lshlrev_b64 v[12:13], 2, v[12:13]
	v_addc_co_u32_e32 v11, vcc, v7, v11, vcc
	global_load_dword v16, v[8:9], off
	global_load_dword v17, v[10:11], off
	v_add_co_u32_e32 v8, vcc, v14, v12
	v_addc_co_u32_e32 v9, vcc, v15, v13, vcc
	global_load_dwordx2 v[10:11], v[8:9], off
	v_add_u32_e32 v6, s22, v6
	v_cmp_le_i32_e32 vcc, s12, v6
	v_add_u32_e32 v4, s25, v4
	s_or_b64 s[8:9], vcc, s[8:9]
	s_waitcnt vmcnt(0)
	v_mul_f32_e32 v12, v17, v11
	v_mul_f32_e32 v13, v16, v11
	v_fma_f32 v12, v16, v10, -v12
	v_fmac_f32_e32 v13, v17, v10
	global_store_dwordx2 v[8:9], v[12:13], off
	s_andn2_b64 exec, exec, s[8:9]
	s_cbranch_execnz .LBB4_2
.LBB4_3:
	s_or_b64 exec, exec, s[2:3]
	s_mul_i32 s2, s19, s13
	v_cmp_gt_i32_e32 vcc, s2, v0
	s_and_saveexec_b64 s[8:9], vcc
	s_cbranch_execz .LBB4_6
; %bb.4:
	s_mul_i32 s3, s6, s11
	s_mul_hi_u32 s8, s6, s10
	s_add_i32 s3, s8, s3
	s_mul_i32 s7, s7, s10
	s_add_i32 s7, s3, s7
	s_mul_i32 s6, s6, s10
	s_lshl_b64 s[6:7], s[6:7], 2
	s_add_u32 s3, s0, s6
	s_addc_u32 s10, s1, s7
	s_abs_i32 s6, s19
	v_cvt_f32_u32_e32 v1, s6
	s_load_dword s0, s[4:5], 0x5c
	s_sub_i32 s1, 0, s6
	s_ashr_i32 s5, s19, 31
	v_rcp_iflag_f32_e32 v1, v1
	s_sub_i32 s9, 0, s19
	s_waitcnt lgkmcnt(0)
	s_and_b32 s4, s0, 0xffff
	s_lshl_b32 s0, s19, 1
	v_mul_f32_e32 v1, 0x4f7ffffe, v1
	v_cvt_u32_f32_e32 v1, v1
	s_sub_i32 s7, 0, s0
	s_lshl_b32 s8, s4, 1
	v_mov_b32_e32 v4, s17
	v_mul_lo_u32 v3, s1, v1
	v_mul_hi_u32 v3, v1, v3
	v_add_u32_e32 v1, v1, v3
	s_mov_b64 s[0:1], 0
	v_mov_b32_e32 v3, s10
	v_mov_b32_e32 v5, s18
.LBB4_5:                                ; =>This Inner Loop Header: Depth=1
	v_sub_u32_e32 v7, 0, v0
	v_max_i32_e32 v7, v0, v7
	v_mul_hi_u32 v8, v7, v1
	v_mul_lo_u32 v9, v8, s6
	v_sub_u32_e32 v7, v7, v9
	v_add_u32_e32 v10, 1, v8
	v_cmp_le_u32_e32 vcc, s6, v7
	v_subrev_u32_e32 v9, s6, v7
	v_cndmask_b32_e32 v8, v8, v10, vcc
	v_cndmask_b32_e32 v7, v7, v9, vcc
	v_ashrrev_i32_e32 v6, 31, v0
	v_add_u32_e32 v9, 1, v8
	v_cmp_le_u32_e32 vcc, s6, v7
	v_xor_b32_e32 v6, s5, v6
	v_cndmask_b32_e32 v7, v8, v9, vcc
	v_xor_b32_e32 v7, v7, v6
	v_sub_u32_e32 v7, v7, v6
	v_mul_lo_u32 v6, v7, s14
	v_mad_u64_u32 v[8:9], s[10:11], s9, v7, v[0:1]
	v_mad_u64_u32 v[10:11], s[10:11], s7, v7, v[2:3]
	v_ashrrev_i32_e32 v7, 31, v6
	v_lshlrev_b64 v[6:7], 2, v[6:7]
	v_ashrrev_i32_e32 v9, 31, v8
	v_add_co_u32_e32 v12, vcc, s3, v6
	v_lshlrev_b64 v[8:9], 2, v[8:9]
	v_addc_co_u32_e32 v13, vcc, v3, v7, vcc
	v_add_co_u32_e32 v6, vcc, s15, v8
	v_addc_co_u32_e32 v7, vcc, v4, v9, vcc
	v_ashrrev_i32_e32 v11, 31, v10
	v_add_co_u32_e32 v8, vcc, s16, v8
	v_lshlrev_b64 v[10:11], 2, v[10:11]
	v_addc_co_u32_e32 v9, vcc, v5, v9, vcc
	global_load_dword v14, v[6:7], off
	global_load_dword v15, v[8:9], off
	v_add_co_u32_e32 v6, vcc, v12, v10
	v_addc_co_u32_e32 v7, vcc, v13, v11, vcc
	global_load_dwordx2 v[8:9], v[6:7], off
	v_add_u32_e32 v0, s4, v0
	v_cmp_le_i32_e32 vcc, s2, v0
	v_add_u32_e32 v2, s8, v2
	s_or_b64 s[0:1], vcc, s[0:1]
	s_waitcnt vmcnt(0)
	v_mul_f32_e32 v10, v15, v9
	v_mul_f32_e32 v11, v14, v9
	v_fma_f32 v10, v14, v8, -v10
	v_fmac_f32_e32 v11, v15, v8
	global_store_dwordx2 v[6:7], v[10:11], off
	s_andn2_b64 exec, exec, s[0:1]
	s_cbranch_execnz .LBB4_5
.LBB4_6:
	s_endpgm
	.section	.rodata,"a",@progbits
	.p2align	6, 0x0
	.amdhsa_kernel _ZN4vllm23rotary_embedding_kernelIfLb0ELb0EEEvPKlPT_S4_PKS3_S6_illiii
		.amdhsa_group_segment_fixed_size 0
		.amdhsa_private_segment_fixed_size 0
		.amdhsa_kernarg_size 336
		.amdhsa_user_sgpr_count 6
		.amdhsa_user_sgpr_private_segment_buffer 1
		.amdhsa_user_sgpr_dispatch_ptr 0
		.amdhsa_user_sgpr_queue_ptr 0
		.amdhsa_user_sgpr_kernarg_segment_ptr 1
		.amdhsa_user_sgpr_dispatch_id 0
		.amdhsa_user_sgpr_flat_scratch_init 0
		.amdhsa_user_sgpr_kernarg_preload_length 0
		.amdhsa_user_sgpr_kernarg_preload_offset 0
		.amdhsa_user_sgpr_private_segment_size 0
		.amdhsa_uses_dynamic_stack 0
		.amdhsa_system_sgpr_private_segment_wavefront_offset 0
		.amdhsa_system_sgpr_workgroup_id_x 1
		.amdhsa_system_sgpr_workgroup_id_y 0
		.amdhsa_system_sgpr_workgroup_id_z 0
		.amdhsa_system_sgpr_workgroup_info 0
		.amdhsa_system_vgpr_workitem_id 0
		.amdhsa_next_free_vgpr 18
		.amdhsa_next_free_sgpr 30
		.amdhsa_accum_offset 20
		.amdhsa_reserve_vcc 1
		.amdhsa_reserve_flat_scratch 0
		.amdhsa_float_round_mode_32 0
		.amdhsa_float_round_mode_16_64 0
		.amdhsa_float_denorm_mode_32 3
		.amdhsa_float_denorm_mode_16_64 3
		.amdhsa_dx10_clamp 1
		.amdhsa_ieee_mode 1
		.amdhsa_fp16_overflow 0
		.amdhsa_tg_split 0
		.amdhsa_exception_fp_ieee_invalid_op 0
		.amdhsa_exception_fp_denorm_src 0
		.amdhsa_exception_fp_ieee_div_zero 0
		.amdhsa_exception_fp_ieee_overflow 0
		.amdhsa_exception_fp_ieee_underflow 0
		.amdhsa_exception_fp_ieee_inexact 0
		.amdhsa_exception_int_div_zero 0
	.end_amdhsa_kernel
	.section	.text._ZN4vllm23rotary_embedding_kernelIfLb0ELb0EEEvPKlPT_S4_PKS3_S6_illiii,"axG",@progbits,_ZN4vllm23rotary_embedding_kernelIfLb0ELb0EEEvPKlPT_S4_PKS3_S6_illiii,comdat
.Lfunc_end4:
	.size	_ZN4vllm23rotary_embedding_kernelIfLb0ELb0EEEvPKlPT_S4_PKS3_S6_illiii, .Lfunc_end4-_ZN4vllm23rotary_embedding_kernelIfLb0ELb0EEEvPKlPT_S4_PKS3_S6_illiii
                                        ; -- End function
	.section	.AMDGPU.csdata,"",@progbits
; Kernel info:
; codeLenInByte = 984
; NumSgprs: 34
; NumVgprs: 18
; NumAgprs: 0
; TotalNumVgprs: 18
; ScratchSize: 0
; MemoryBound: 0
; FloatMode: 240
; IeeeMode: 1
; LDSByteSize: 0 bytes/workgroup (compile time only)
; SGPRBlocks: 4
; VGPRBlocks: 2
; NumSGPRsForWavesPerEU: 34
; NumVGPRsForWavesPerEU: 18
; AccumOffset: 20
; Occupancy: 8
; WaveLimiterHint : 1
; COMPUTE_PGM_RSRC2:SCRATCH_EN: 0
; COMPUTE_PGM_RSRC2:USER_SGPR: 6
; COMPUTE_PGM_RSRC2:TRAP_HANDLER: 0
; COMPUTE_PGM_RSRC2:TGID_X_EN: 1
; COMPUTE_PGM_RSRC2:TGID_Y_EN: 0
; COMPUTE_PGM_RSRC2:TGID_Z_EN: 0
; COMPUTE_PGM_RSRC2:TIDIG_COMP_CNT: 0
; COMPUTE_PGM_RSRC3_GFX90A:ACCUM_OFFSET: 4
; COMPUTE_PGM_RSRC3_GFX90A:TG_SPLIT: 0
	.section	.text._ZN4vllm23rotary_embedding_kernelIN3c104HalfELb1ELb1EEEvPKlPT_S6_PKS5_S8_illiii,"axG",@progbits,_ZN4vllm23rotary_embedding_kernelIN3c104HalfELb1ELb1EEEvPKlPT_S6_PKS5_S8_illiii,comdat
	.protected	_ZN4vllm23rotary_embedding_kernelIN3c104HalfELb1ELb1EEEvPKlPT_S6_PKS5_S8_illiii ; -- Begin function _ZN4vllm23rotary_embedding_kernelIN3c104HalfELb1ELb1EEEvPKlPT_S6_PKS5_S8_illiii
	.globl	_ZN4vllm23rotary_embedding_kernelIN3c104HalfELb1ELb1EEEvPKlPT_S6_PKS5_S8_illiii
	.p2align	8
	.type	_ZN4vllm23rotary_embedding_kernelIN3c104HalfELb1ELb1EEEvPKlPT_S6_PKS5_S8_illiii,@function
_ZN4vllm23rotary_embedding_kernelIN3c104HalfELb1ELb1EEEvPKlPT_S6_PKS5_S8_illiii: ; @_ZN4vllm23rotary_embedding_kernelIN3c104HalfELb1ELb1EEEvPKlPT_S6_PKS5_S8_illiii
; %bb.0:
	s_load_dword s25, s[4:5], 0x28
	s_load_dwordx2 s[8:9], s[4:5], 0x0
	s_load_dwordx4 s[0:3], s[4:5], 0x10
	s_ashr_i32 s7, s6, 31
	s_lshl_b64 s[10:11], s[6:7], 3
	s_waitcnt lgkmcnt(0)
	s_ashr_i32 s22, s25, 31
	s_add_u32 s16, s8, s10
	s_addc_u32 s17, s9, s11
	s_load_dwordx2 s[18:19], s[16:17], 0x0
	s_load_dwordx2 s[20:21], s[4:5], 0x20
	s_load_dwordx8 s[8:15], s[4:5], 0x30
	s_waitcnt lgkmcnt(0)
	s_mul_i32 s15, s18, s22
	s_mul_hi_u32 s16, s18, s25
	s_add_i32 s15, s16, s15
	s_mul_i32 s16, s19, s25
	s_add_i32 s15, s15, s16
	s_mul_i32 s16, s18, s25
	s_lshr_b32 s17, s15, 31
	s_add_u32 s16, s16, s17
	s_addc_u32 s17, s15, 0
	s_and_b32 s16, s16, -2
	s_add_u32 s15, s2, s16
	s_addc_u32 s23, s3, s17
	s_add_u32 s22, s20, s16
	s_addc_u32 s24, s21, s17
	s_lshr_b32 s2, s25, 31
	s_add_i32 s2, s25, s2
	s_ashr_i32 s2, s2, 1
	s_mul_i32 s12, s2, s12
	s_sub_i32 s16, s14, s25
	s_ashr_i32 s17, s16, 31
	v_cmp_gt_i32_e32 vcc, s12, v0
	s_and_saveexec_b64 s[18:19], vcc
	s_cbranch_execz .LBB5_3
; %bb.1:
	s_load_dwordx2 s[20:21], s[4:5], 0x8
	s_load_dword s28, s[4:5], 0x5c
	s_lshl_b64 s[26:27], s[16:17], 1
	s_mul_i32 s3, s6, s9
	s_mul_hi_u32 s9, s6, s8
	s_waitcnt lgkmcnt(0)
	s_add_u32 s20, s20, s26
	s_addc_u32 s21, s21, s27
	s_add_i32 s3, s9, s3
	s_mul_i32 s9, s7, s8
	s_add_i32 s9, s3, s9
	s_mul_i32 s8, s6, s8
	s_lshl_b64 s[8:9], s[8:9], 1
	s_add_u32 s25, s20, s8
	s_addc_u32 s20, s21, s9
	s_abs_i32 s26, s2
	v_cvt_f32_u32_e32 v1, s26
	s_sub_i32 s21, 0, s26
	s_ashr_i32 s3, s2, 31
	v_mov_b32_e32 v3, s20
	v_rcp_iflag_f32_e32 v1, v1
	s_mov_b64 s[8:9], 0
	s_and_b32 s27, s28, 0xffff
	s_sub_i32 s28, 0, s2
	v_mul_f32_e32 v1, 0x4f7ffffe, v1
	v_cvt_u32_f32_e32 v1, v1
	v_mov_b32_e32 v4, s23
	v_mov_b32_e32 v5, s24
	v_mul_lo_u32 v2, s21, v1
	v_mul_hi_u32 v2, v1, v2
	s_lshl_b64 s[20:21], s[2:3], 1
	v_add_u32_e32 v1, v1, v2
	v_mov_b32_e32 v6, s21
	v_mov_b32_e32 v2, v0
.LBB5_2:                                ; =>This Inner Loop Header: Depth=1
	v_sub_u32_e32 v8, 0, v2
	v_max_i32_e32 v8, v2, v8
	v_mul_hi_u32 v9, v8, v1
	v_mul_lo_u32 v10, v9, s26
	v_sub_u32_e32 v8, v8, v10
	v_add_u32_e32 v11, 1, v9
	v_cmp_le_u32_e32 vcc, s26, v8
	v_subrev_u32_e32 v10, s26, v8
	v_cndmask_b32_e32 v9, v9, v11, vcc
	v_cndmask_b32_e32 v8, v8, v10, vcc
	v_ashrrev_i32_e32 v7, 31, v2
	v_add_u32_e32 v10, 1, v9
	v_cmp_le_u32_e32 vcc, s26, v8
	v_xor_b32_e32 v7, s3, v7
	v_cndmask_b32_e32 v8, v9, v10, vcc
	v_xor_b32_e32 v8, v8, v7
	v_sub_u32_e32 v7, v8, v7
	v_mul_lo_u32 v8, v7, s14
	v_ashrrev_i32_e32 v9, 31, v8
	v_mad_u64_u32 v[10:11], s[30:31], s28, v7, v[2:3]
	v_lshlrev_b64 v[8:9], 1, v[8:9]
	v_ashrrev_i32_e32 v11, 31, v10
	v_add_co_u32_e32 v7, vcc, s25, v8
	v_lshlrev_b64 v[10:11], 1, v[10:11]
	v_addc_co_u32_e32 v14, vcc, v3, v9, vcc
	v_add_co_u32_e32 v8, vcc, s15, v10
	v_addc_co_u32_e32 v9, vcc, v4, v11, vcc
	v_add_co_u32_e32 v12, vcc, s22, v10
	v_addc_co_u32_e32 v13, vcc, v5, v11, vcc
	global_load_ushort v15, v[8:9], off
	global_load_ushort v16, v[12:13], off
	v_add_co_u32_e32 v8, vcc, v7, v10
	v_addc_co_u32_e32 v9, vcc, v14, v11, vcc
	v_add_co_u32_e32 v10, vcc, s20, v8
	v_addc_co_u32_e32 v11, vcc, v9, v6, vcc
	global_load_ushort v7, v[8:9], off
	global_load_ushort v12, v[10:11], off
	v_add_u32_e32 v2, s27, v2
	v_cmp_le_i32_e32 vcc, s12, v2
	s_or_b64 s[8:9], vcc, s[8:9]
	s_waitcnt vmcnt(0)
	v_mul_f16_e32 v13, v16, v12
	v_mul_f16_e32 v12, v15, v12
	v_fma_f16 v13, v15, v7, -v13
	v_fma_f16 v7, v16, v7, v12
	global_store_short v[8:9], v13, off
	global_store_short v[10:11], v7, off
	s_andn2_b64 exec, exec, s[8:9]
	s_cbranch_execnz .LBB5_2
.LBB5_3:
	s_or_b64 exec, exec, s[18:19]
	s_mul_i32 s8, s2, s13
	v_cmp_gt_i32_e32 vcc, s8, v0
	s_and_saveexec_b64 s[12:13], vcc
	s_cbranch_execz .LBB5_6
; %bb.4:
	s_lshl_b64 s[12:13], s[16:17], 1
	s_add_u32 s3, s0, s12
	s_addc_u32 s9, s1, s13
	s_mul_i32 s0, s6, s11
	s_mul_hi_u32 s1, s6, s10
	s_add_i32 s0, s1, s0
	s_mul_i32 s1, s7, s10
	s_add_i32 s1, s0, s1
	s_mul_i32 s0, s6, s10
	s_lshl_b64 s[0:1], s[0:1], 1
	s_add_u32 s6, s3, s0
	s_addc_u32 s11, s9, s1
	s_abs_i32 s7, s2
	v_cvt_f32_u32_e32 v1, s7
	s_load_dword s0, s[4:5], 0x5c
	s_ashr_i32 s3, s2, 31
	s_lshl_b64 s[4:5], s[2:3], 1
	v_rcp_iflag_f32_e32 v1, v1
	s_sub_i32 s10, 0, s2
	s_waitcnt lgkmcnt(0)
	s_and_b32 s9, s0, 0xffff
	s_sub_i32 s0, 0, s7
	v_mul_f32_e32 v1, 0x4f7ffffe, v1
	v_cvt_u32_f32_e32 v1, v1
	v_mov_b32_e32 v3, s23
	v_mov_b32_e32 v4, s24
	;; [unrolled: 1-line block ×3, first 2 shown]
	v_mul_lo_u32 v2, s0, v1
	v_mul_hi_u32 v2, v1, v2
	v_add_u32_e32 v1, v1, v2
	s_mov_b64 s[0:1], 0
	v_mov_b32_e32 v2, s11
.LBB5_5:                                ; =>This Inner Loop Header: Depth=1
	v_sub_u32_e32 v7, 0, v0
	v_max_i32_e32 v7, v0, v7
	v_mul_hi_u32 v8, v7, v1
	v_mul_lo_u32 v9, v8, s7
	v_sub_u32_e32 v7, v7, v9
	v_add_u32_e32 v10, 1, v8
	v_cmp_le_u32_e32 vcc, s7, v7
	v_subrev_u32_e32 v9, s7, v7
	v_cndmask_b32_e32 v8, v8, v10, vcc
	v_cndmask_b32_e32 v7, v7, v9, vcc
	v_ashrrev_i32_e32 v6, 31, v0
	v_add_u32_e32 v9, 1, v8
	v_cmp_le_u32_e32 vcc, s7, v7
	v_xor_b32_e32 v6, s3, v6
	v_cndmask_b32_e32 v7, v8, v9, vcc
	v_xor_b32_e32 v7, v7, v6
	v_sub_u32_e32 v7, v7, v6
	v_mul_lo_u32 v6, v7, s14
	v_mad_u64_u32 v[8:9], s[12:13], s10, v7, v[0:1]
	v_ashrrev_i32_e32 v7, 31, v6
	v_lshlrev_b64 v[6:7], 1, v[6:7]
	v_ashrrev_i32_e32 v9, 31, v8
	v_add_co_u32_e32 v12, vcc, s6, v6
	v_lshlrev_b64 v[8:9], 1, v[8:9]
	v_addc_co_u32_e32 v13, vcc, v2, v7, vcc
	v_add_co_u32_e32 v6, vcc, s15, v8
	v_addc_co_u32_e32 v7, vcc, v3, v9, vcc
	v_add_co_u32_e32 v10, vcc, s22, v8
	v_addc_co_u32_e32 v11, vcc, v4, v9, vcc
	global_load_ushort v14, v[6:7], off
	global_load_ushort v15, v[10:11], off
	v_add_co_u32_e32 v6, vcc, v12, v8
	v_addc_co_u32_e32 v7, vcc, v13, v9, vcc
	v_add_co_u32_e32 v8, vcc, s4, v6
	v_addc_co_u32_e32 v9, vcc, v7, v5, vcc
	global_load_ushort v10, v[6:7], off
	global_load_ushort v11, v[8:9], off
	v_add_u32_e32 v0, s9, v0
	v_cmp_le_i32_e32 vcc, s8, v0
	s_or_b64 s[0:1], vcc, s[0:1]
	s_waitcnt vmcnt(0)
	v_mul_f16_e32 v12, v15, v11
	v_mul_f16_e32 v11, v14, v11
	v_fma_f16 v12, v14, v10, -v12
	v_fma_f16 v10, v15, v10, v11
	global_store_short v[6:7], v12, off
	global_store_short v[8:9], v10, off
	s_andn2_b64 exec, exec, s[0:1]
	s_cbranch_execnz .LBB5_5
.LBB5_6:
	s_endpgm
	.section	.rodata,"a",@progbits
	.p2align	6, 0x0
	.amdhsa_kernel _ZN4vllm23rotary_embedding_kernelIN3c104HalfELb1ELb1EEEvPKlPT_S6_PKS5_S8_illiii
		.amdhsa_group_segment_fixed_size 0
		.amdhsa_private_segment_fixed_size 0
		.amdhsa_kernarg_size 336
		.amdhsa_user_sgpr_count 6
		.amdhsa_user_sgpr_private_segment_buffer 1
		.amdhsa_user_sgpr_dispatch_ptr 0
		.amdhsa_user_sgpr_queue_ptr 0
		.amdhsa_user_sgpr_kernarg_segment_ptr 1
		.amdhsa_user_sgpr_dispatch_id 0
		.amdhsa_user_sgpr_flat_scratch_init 0
		.amdhsa_user_sgpr_kernarg_preload_length 0
		.amdhsa_user_sgpr_kernarg_preload_offset 0
		.amdhsa_user_sgpr_private_segment_size 0
		.amdhsa_uses_dynamic_stack 0
		.amdhsa_system_sgpr_private_segment_wavefront_offset 0
		.amdhsa_system_sgpr_workgroup_id_x 1
		.amdhsa_system_sgpr_workgroup_id_y 0
		.amdhsa_system_sgpr_workgroup_id_z 0
		.amdhsa_system_sgpr_workgroup_info 0
		.amdhsa_system_vgpr_workitem_id 0
		.amdhsa_next_free_vgpr 17
		.amdhsa_next_free_sgpr 32
		.amdhsa_accum_offset 20
		.amdhsa_reserve_vcc 1
		.amdhsa_reserve_flat_scratch 0
		.amdhsa_float_round_mode_32 0
		.amdhsa_float_round_mode_16_64 0
		.amdhsa_float_denorm_mode_32 3
		.amdhsa_float_denorm_mode_16_64 3
		.amdhsa_dx10_clamp 1
		.amdhsa_ieee_mode 1
		.amdhsa_fp16_overflow 0
		.amdhsa_tg_split 0
		.amdhsa_exception_fp_ieee_invalid_op 0
		.amdhsa_exception_fp_denorm_src 0
		.amdhsa_exception_fp_ieee_div_zero 0
		.amdhsa_exception_fp_ieee_overflow 0
		.amdhsa_exception_fp_ieee_underflow 0
		.amdhsa_exception_fp_ieee_inexact 0
		.amdhsa_exception_int_div_zero 0
	.end_amdhsa_kernel
	.section	.text._ZN4vllm23rotary_embedding_kernelIN3c104HalfELb1ELb1EEEvPKlPT_S6_PKS5_S8_illiii,"axG",@progbits,_ZN4vllm23rotary_embedding_kernelIN3c104HalfELb1ELb1EEEvPKlPT_S6_PKS5_S8_illiii,comdat
.Lfunc_end5:
	.size	_ZN4vllm23rotary_embedding_kernelIN3c104HalfELb1ELb1EEEvPKlPT_S6_PKS5_S8_illiii, .Lfunc_end5-_ZN4vllm23rotary_embedding_kernelIN3c104HalfELb1ELb1EEEvPKlPT_S6_PKS5_S8_illiii
                                        ; -- End function
	.section	.AMDGPU.csdata,"",@progbits
; Kernel info:
; codeLenInByte = 1004
; NumSgprs: 36
; NumVgprs: 17
; NumAgprs: 0
; TotalNumVgprs: 17
; ScratchSize: 0
; MemoryBound: 0
; FloatMode: 240
; IeeeMode: 1
; LDSByteSize: 0 bytes/workgroup (compile time only)
; SGPRBlocks: 4
; VGPRBlocks: 2
; NumSGPRsForWavesPerEU: 36
; NumVGPRsForWavesPerEU: 17
; AccumOffset: 20
; Occupancy: 8
; WaveLimiterHint : 1
; COMPUTE_PGM_RSRC2:SCRATCH_EN: 0
; COMPUTE_PGM_RSRC2:USER_SGPR: 6
; COMPUTE_PGM_RSRC2:TRAP_HANDLER: 0
; COMPUTE_PGM_RSRC2:TGID_X_EN: 1
; COMPUTE_PGM_RSRC2:TGID_Y_EN: 0
; COMPUTE_PGM_RSRC2:TGID_Z_EN: 0
; COMPUTE_PGM_RSRC2:TIDIG_COMP_CNT: 0
; COMPUTE_PGM_RSRC3_GFX90A:ACCUM_OFFSET: 4
; COMPUTE_PGM_RSRC3_GFX90A:TG_SPLIT: 0
	.section	.text._ZN4vllm23rotary_embedding_kernelIN3c104HalfELb1ELb0EEEvPKlPT_S6_PKS5_S8_illiii,"axG",@progbits,_ZN4vllm23rotary_embedding_kernelIN3c104HalfELb1ELb0EEEvPKlPT_S6_PKS5_S8_illiii,comdat
	.protected	_ZN4vllm23rotary_embedding_kernelIN3c104HalfELb1ELb0EEEvPKlPT_S6_PKS5_S8_illiii ; -- Begin function _ZN4vllm23rotary_embedding_kernelIN3c104HalfELb1ELb0EEEvPKlPT_S6_PKS5_S8_illiii
	.globl	_ZN4vllm23rotary_embedding_kernelIN3c104HalfELb1ELb0EEEvPKlPT_S6_PKS5_S8_illiii
	.p2align	8
	.type	_ZN4vllm23rotary_embedding_kernelIN3c104HalfELb1ELb0EEEvPKlPT_S6_PKS5_S8_illiii,@function
_ZN4vllm23rotary_embedding_kernelIN3c104HalfELb1ELb0EEEvPKlPT_S6_PKS5_S8_illiii: ; @_ZN4vllm23rotary_embedding_kernelIN3c104HalfELb1ELb0EEEvPKlPT_S6_PKS5_S8_illiii
; %bb.0:
	s_load_dword s24, s[4:5], 0x28
	s_load_dwordx2 s[8:9], s[4:5], 0x0
	s_load_dwordx4 s[0:3], s[4:5], 0x10
	s_ashr_i32 s7, s6, 31
	s_lshl_b64 s[10:11], s[6:7], 3
	s_waitcnt lgkmcnt(0)
	s_ashr_i32 s20, s24, 31
	s_add_u32 s16, s8, s10
	s_addc_u32 s17, s9, s11
	s_load_dwordx2 s[18:19], s[16:17], 0x0
	s_load_dwordx2 s[22:23], s[4:5], 0x20
	s_load_dwordx8 s[8:15], s[4:5], 0x30
	s_waitcnt lgkmcnt(0)
	s_mul_i32 s15, s18, s20
	s_mul_hi_u32 s16, s18, s24
	s_add_i32 s15, s16, s15
	s_mul_i32 s16, s19, s24
	s_add_i32 s15, s15, s16
	s_mul_i32 s16, s18, s24
	s_lshr_b32 s17, s15, 31
	s_add_u32 s16, s16, s17
	s_addc_u32 s17, s15, 0
	s_and_b32 s16, s16, -2
	s_add_u32 s15, s2, s16
	s_addc_u32 s21, s3, s17
	s_add_u32 s20, s22, s16
	s_addc_u32 s22, s23, s17
	s_lshr_b32 s2, s24, 31
	s_add_i32 s24, s24, s2
	s_ashr_i32 s2, s24, 1
	s_mul_i32 s12, s2, s12
	v_cmp_gt_i32_e32 vcc, s12, v0
	s_and_saveexec_b64 s[16:17], vcc
	s_cbranch_execz .LBB6_3
; %bb.1:
	s_load_dwordx2 s[18:19], s[4:5], 0x8
	s_mul_i32 s3, s6, s9
	s_mul_hi_u32 s9, s6, s8
	s_add_i32 s3, s9, s3
	s_mul_i32 s9, s7, s8
	s_add_i32 s9, s3, s9
	s_load_dword s3, s[4:5], 0x5c
	s_mul_i32 s8, s6, s8
	s_lshl_b64 s[8:9], s[8:9], 1
	s_waitcnt lgkmcnt(0)
	s_add_u32 s23, s18, s8
	s_addc_u32 s18, s19, s9
	s_abs_i32 s24, s2
	v_cvt_f32_u32_e32 v1, s24
	s_sub_i32 s8, 0, s24
	s_and_b32 s25, s3, 0xffff
	s_ashr_i32 s3, s2, 31
	v_rcp_iflag_f32_e32 v1, v1
	v_mov_b32_e32 v3, s18
	s_lshl_b64 s[18:19], s[2:3], 1
	s_sub_i32 s26, 0, s2
	v_mul_f32_e32 v1, 0x4f7ffffe, v1
	v_cvt_u32_f32_e32 v1, v1
	v_mov_b32_e32 v4, s21
	v_mov_b32_e32 v5, s22
	;; [unrolled: 1-line block ×3, first 2 shown]
	v_mul_lo_u32 v2, s8, v1
	v_mul_hi_u32 v2, v1, v2
	v_add_u32_e32 v1, v1, v2
	s_mov_b64 s[8:9], 0
	v_mov_b32_e32 v2, v0
.LBB6_2:                                ; =>This Inner Loop Header: Depth=1
	v_sub_u32_e32 v8, 0, v2
	v_max_i32_e32 v8, v2, v8
	v_mul_hi_u32 v9, v8, v1
	v_mul_lo_u32 v10, v9, s24
	v_sub_u32_e32 v8, v8, v10
	v_add_u32_e32 v11, 1, v9
	v_cmp_le_u32_e32 vcc, s24, v8
	v_subrev_u32_e32 v10, s24, v8
	v_cndmask_b32_e32 v9, v9, v11, vcc
	v_cndmask_b32_e32 v8, v8, v10, vcc
	v_ashrrev_i32_e32 v7, 31, v2
	v_add_u32_e32 v10, 1, v9
	v_cmp_le_u32_e32 vcc, s24, v8
	v_xor_b32_e32 v7, s3, v7
	v_cndmask_b32_e32 v8, v9, v10, vcc
	v_xor_b32_e32 v8, v8, v7
	v_sub_u32_e32 v7, v8, v7
	v_mul_lo_u32 v8, v7, s14
	v_ashrrev_i32_e32 v9, 31, v8
	v_mad_u64_u32 v[10:11], s[28:29], s26, v7, v[2:3]
	v_lshlrev_b64 v[8:9], 1, v[8:9]
	v_ashrrev_i32_e32 v11, 31, v10
	v_add_co_u32_e32 v7, vcc, s23, v8
	v_lshlrev_b64 v[10:11], 1, v[10:11]
	v_addc_co_u32_e32 v14, vcc, v3, v9, vcc
	v_add_co_u32_e32 v8, vcc, s15, v10
	v_addc_co_u32_e32 v9, vcc, v4, v11, vcc
	v_add_co_u32_e32 v12, vcc, s20, v10
	v_addc_co_u32_e32 v13, vcc, v5, v11, vcc
	global_load_ushort v15, v[8:9], off
	global_load_ushort v16, v[12:13], off
	v_add_co_u32_e32 v8, vcc, v7, v10
	v_addc_co_u32_e32 v9, vcc, v14, v11, vcc
	v_add_co_u32_e32 v10, vcc, s18, v8
	v_addc_co_u32_e32 v11, vcc, v9, v6, vcc
	global_load_ushort v7, v[8:9], off
	global_load_ushort v12, v[10:11], off
	v_add_u32_e32 v2, s25, v2
	v_cmp_le_i32_e32 vcc, s12, v2
	s_or_b64 s[8:9], vcc, s[8:9]
	s_waitcnt vmcnt(0)
	v_mul_f16_e32 v13, v16, v12
	v_mul_f16_e32 v12, v15, v12
	v_fma_f16 v13, v15, v7, -v13
	v_fma_f16 v7, v16, v7, v12
	global_store_short v[8:9], v13, off
	global_store_short v[10:11], v7, off
	s_andn2_b64 exec, exec, s[8:9]
	s_cbranch_execnz .LBB6_2
.LBB6_3:
	s_or_b64 exec, exec, s[16:17]
	s_mul_i32 s8, s2, s13
	v_cmp_gt_i32_e32 vcc, s8, v0
	s_and_saveexec_b64 s[12:13], vcc
	s_cbranch_execz .LBB6_6
; %bb.4:
	s_mul_i32 s3, s6, s11
	s_mul_hi_u32 s9, s6, s10
	s_add_i32 s3, s9, s3
	s_mul_i32 s7, s7, s10
	s_add_i32 s7, s3, s7
	s_mul_i32 s6, s6, s10
	s_lshl_b64 s[6:7], s[6:7], 1
	s_add_u32 s6, s0, s6
	s_addc_u32 s11, s1, s7
	s_abs_i32 s7, s2
	v_cvt_f32_u32_e32 v1, s7
	s_load_dword s0, s[4:5], 0x5c
	s_ashr_i32 s3, s2, 31
	s_lshl_b64 s[4:5], s[2:3], 1
	v_rcp_iflag_f32_e32 v1, v1
	s_sub_i32 s10, 0, s2
	s_waitcnt lgkmcnt(0)
	s_and_b32 s9, s0, 0xffff
	s_sub_i32 s0, 0, s7
	v_mul_f32_e32 v1, 0x4f7ffffe, v1
	v_cvt_u32_f32_e32 v1, v1
	v_mov_b32_e32 v3, s21
	v_mov_b32_e32 v4, s22
	;; [unrolled: 1-line block ×3, first 2 shown]
	v_mul_lo_u32 v2, s0, v1
	v_mul_hi_u32 v2, v1, v2
	v_add_u32_e32 v1, v1, v2
	s_mov_b64 s[0:1], 0
	v_mov_b32_e32 v2, s11
.LBB6_5:                                ; =>This Inner Loop Header: Depth=1
	v_sub_u32_e32 v7, 0, v0
	v_max_i32_e32 v7, v0, v7
	v_mul_hi_u32 v8, v7, v1
	v_mul_lo_u32 v9, v8, s7
	v_sub_u32_e32 v7, v7, v9
	v_add_u32_e32 v10, 1, v8
	v_cmp_le_u32_e32 vcc, s7, v7
	v_subrev_u32_e32 v9, s7, v7
	v_cndmask_b32_e32 v8, v8, v10, vcc
	v_cndmask_b32_e32 v7, v7, v9, vcc
	v_ashrrev_i32_e32 v6, 31, v0
	v_add_u32_e32 v9, 1, v8
	v_cmp_le_u32_e32 vcc, s7, v7
	v_xor_b32_e32 v6, s3, v6
	v_cndmask_b32_e32 v7, v8, v9, vcc
	v_xor_b32_e32 v7, v7, v6
	v_sub_u32_e32 v7, v7, v6
	v_mul_lo_u32 v6, v7, s14
	v_mad_u64_u32 v[8:9], s[12:13], s10, v7, v[0:1]
	v_ashrrev_i32_e32 v7, 31, v6
	v_lshlrev_b64 v[6:7], 1, v[6:7]
	v_ashrrev_i32_e32 v9, 31, v8
	v_add_co_u32_e32 v12, vcc, s6, v6
	v_lshlrev_b64 v[8:9], 1, v[8:9]
	v_addc_co_u32_e32 v13, vcc, v2, v7, vcc
	v_add_co_u32_e32 v6, vcc, s15, v8
	v_addc_co_u32_e32 v7, vcc, v3, v9, vcc
	v_add_co_u32_e32 v10, vcc, s20, v8
	v_addc_co_u32_e32 v11, vcc, v4, v9, vcc
	global_load_ushort v14, v[6:7], off
	global_load_ushort v15, v[10:11], off
	v_add_co_u32_e32 v6, vcc, v12, v8
	v_addc_co_u32_e32 v7, vcc, v13, v9, vcc
	v_add_co_u32_e32 v8, vcc, s4, v6
	v_addc_co_u32_e32 v9, vcc, v7, v5, vcc
	global_load_ushort v10, v[6:7], off
	global_load_ushort v11, v[8:9], off
	v_add_u32_e32 v0, s9, v0
	v_cmp_le_i32_e32 vcc, s8, v0
	s_or_b64 s[0:1], vcc, s[0:1]
	s_waitcnt vmcnt(0)
	v_mul_f16_e32 v12, v15, v11
	v_mul_f16_e32 v11, v14, v11
	v_fma_f16 v12, v14, v10, -v12
	v_fma_f16 v10, v15, v10, v11
	global_store_short v[6:7], v12, off
	global_store_short v[8:9], v10, off
	s_andn2_b64 exec, exec, s[0:1]
	s_cbranch_execnz .LBB6_5
.LBB6_6:
	s_endpgm
	.section	.rodata,"a",@progbits
	.p2align	6, 0x0
	.amdhsa_kernel _ZN4vllm23rotary_embedding_kernelIN3c104HalfELb1ELb0EEEvPKlPT_S6_PKS5_S8_illiii
		.amdhsa_group_segment_fixed_size 0
		.amdhsa_private_segment_fixed_size 0
		.amdhsa_kernarg_size 336
		.amdhsa_user_sgpr_count 6
		.amdhsa_user_sgpr_private_segment_buffer 1
		.amdhsa_user_sgpr_dispatch_ptr 0
		.amdhsa_user_sgpr_queue_ptr 0
		.amdhsa_user_sgpr_kernarg_segment_ptr 1
		.amdhsa_user_sgpr_dispatch_id 0
		.amdhsa_user_sgpr_flat_scratch_init 0
		.amdhsa_user_sgpr_kernarg_preload_length 0
		.amdhsa_user_sgpr_kernarg_preload_offset 0
		.amdhsa_user_sgpr_private_segment_size 0
		.amdhsa_uses_dynamic_stack 0
		.amdhsa_system_sgpr_private_segment_wavefront_offset 0
		.amdhsa_system_sgpr_workgroup_id_x 1
		.amdhsa_system_sgpr_workgroup_id_y 0
		.amdhsa_system_sgpr_workgroup_id_z 0
		.amdhsa_system_sgpr_workgroup_info 0
		.amdhsa_system_vgpr_workitem_id 0
		.amdhsa_next_free_vgpr 17
		.amdhsa_next_free_sgpr 30
		.amdhsa_accum_offset 20
		.amdhsa_reserve_vcc 1
		.amdhsa_reserve_flat_scratch 0
		.amdhsa_float_round_mode_32 0
		.amdhsa_float_round_mode_16_64 0
		.amdhsa_float_denorm_mode_32 3
		.amdhsa_float_denorm_mode_16_64 3
		.amdhsa_dx10_clamp 1
		.amdhsa_ieee_mode 1
		.amdhsa_fp16_overflow 0
		.amdhsa_tg_split 0
		.amdhsa_exception_fp_ieee_invalid_op 0
		.amdhsa_exception_fp_denorm_src 0
		.amdhsa_exception_fp_ieee_div_zero 0
		.amdhsa_exception_fp_ieee_overflow 0
		.amdhsa_exception_fp_ieee_underflow 0
		.amdhsa_exception_fp_ieee_inexact 0
		.amdhsa_exception_int_div_zero 0
	.end_amdhsa_kernel
	.section	.text._ZN4vllm23rotary_embedding_kernelIN3c104HalfELb1ELb0EEEvPKlPT_S6_PKS5_S8_illiii,"axG",@progbits,_ZN4vllm23rotary_embedding_kernelIN3c104HalfELb1ELb0EEEvPKlPT_S6_PKS5_S8_illiii,comdat
.Lfunc_end6:
	.size	_ZN4vllm23rotary_embedding_kernelIN3c104HalfELb1ELb0EEEvPKlPT_S6_PKS5_S8_illiii, .Lfunc_end6-_ZN4vllm23rotary_embedding_kernelIN3c104HalfELb1ELb0EEEvPKlPT_S6_PKS5_S8_illiii
                                        ; -- End function
	.section	.AMDGPU.csdata,"",@progbits
; Kernel info:
; codeLenInByte = 972
; NumSgprs: 34
; NumVgprs: 17
; NumAgprs: 0
; TotalNumVgprs: 17
; ScratchSize: 0
; MemoryBound: 0
; FloatMode: 240
; IeeeMode: 1
; LDSByteSize: 0 bytes/workgroup (compile time only)
; SGPRBlocks: 4
; VGPRBlocks: 2
; NumSGPRsForWavesPerEU: 34
; NumVGPRsForWavesPerEU: 17
; AccumOffset: 20
; Occupancy: 8
; WaveLimiterHint : 1
; COMPUTE_PGM_RSRC2:SCRATCH_EN: 0
; COMPUTE_PGM_RSRC2:USER_SGPR: 6
; COMPUTE_PGM_RSRC2:TRAP_HANDLER: 0
; COMPUTE_PGM_RSRC2:TGID_X_EN: 1
; COMPUTE_PGM_RSRC2:TGID_Y_EN: 0
; COMPUTE_PGM_RSRC2:TGID_Z_EN: 0
; COMPUTE_PGM_RSRC2:TIDIG_COMP_CNT: 0
; COMPUTE_PGM_RSRC3_GFX90A:ACCUM_OFFSET: 4
; COMPUTE_PGM_RSRC3_GFX90A:TG_SPLIT: 0
	.section	.text._ZN4vllm23rotary_embedding_kernelIN3c104HalfELb0ELb1EEEvPKlPT_S6_PKS5_S8_illiii,"axG",@progbits,_ZN4vllm23rotary_embedding_kernelIN3c104HalfELb0ELb1EEEvPKlPT_S6_PKS5_S8_illiii,comdat
	.protected	_ZN4vllm23rotary_embedding_kernelIN3c104HalfELb0ELb1EEEvPKlPT_S6_PKS5_S8_illiii ; -- Begin function _ZN4vllm23rotary_embedding_kernelIN3c104HalfELb0ELb1EEEvPKlPT_S6_PKS5_S8_illiii
	.globl	_ZN4vllm23rotary_embedding_kernelIN3c104HalfELb0ELb1EEEvPKlPT_S6_PKS5_S8_illiii
	.p2align	8
	.type	_ZN4vllm23rotary_embedding_kernelIN3c104HalfELb0ELb1EEEvPKlPT_S6_PKS5_S8_illiii,@function
_ZN4vllm23rotary_embedding_kernelIN3c104HalfELb0ELb1EEEvPKlPT_S6_PKS5_S8_illiii: ; @_ZN4vllm23rotary_embedding_kernelIN3c104HalfELb0ELb1EEEvPKlPT_S6_PKS5_S8_illiii
; %bb.0:
	s_load_dword s22, s[4:5], 0x28
	s_load_dwordx2 s[8:9], s[4:5], 0x0
	s_load_dwordx4 s[0:3], s[4:5], 0x10
	s_ashr_i32 s7, s6, 31
	s_lshl_b64 s[10:11], s[6:7], 3
	s_waitcnt lgkmcnt(0)
	s_ashr_i32 s23, s22, 31
	s_add_u32 s16, s8, s10
	s_addc_u32 s17, s9, s11
	s_load_dwordx2 s[18:19], s[16:17], 0x0
	s_load_dwordx2 s[20:21], s[4:5], 0x20
	s_load_dwordx8 s[8:15], s[4:5], 0x30
	v_lshlrev_b32_e32 v2, 1, v0
	s_waitcnt lgkmcnt(0)
	s_mul_i32 s15, s18, s23
	s_mul_hi_u32 s16, s18, s22
	s_add_i32 s15, s16, s15
	s_mul_i32 s16, s19, s22
	s_add_i32 s15, s15, s16
	s_mul_i32 s16, s18, s22
	s_lshr_b32 s17, s15, 31
	s_add_u32 s16, s16, s17
	s_addc_u32 s17, s15, 0
	s_and_b32 s16, s16, -2
	s_add_u32 s15, s2, s16
	s_addc_u32 s19, s3, s17
	s_add_u32 s18, s20, s16
	s_addc_u32 s20, s21, s17
	s_lshr_b32 s2, s22, 31
	s_add_i32 s2, s22, s2
	s_ashr_i32 s21, s2, 1
	s_mul_i32 s12, s21, s12
	s_sub_i32 s2, s14, s22
	s_ashr_i32 s3, s2, 31
	v_cmp_gt_i32_e32 vcc, s12, v0
	s_and_saveexec_b64 s[16:17], vcc
	s_cbranch_execz .LBB7_3
; %bb.1:
	s_load_dwordx2 s[22:23], s[4:5], 0x8
	s_load_dword s27, s[4:5], 0x5c
	s_lshl_b64 s[24:25], s[2:3], 1
	s_mul_i32 s9, s6, s9
	s_mul_hi_u32 s26, s6, s8
	s_waitcnt lgkmcnt(0)
	s_add_u32 s22, s22, s24
	s_addc_u32 s23, s23, s25
	s_add_i32 s9, s26, s9
	s_mul_i32 s24, s7, s8
	s_add_i32 s9, s9, s24
	s_mul_i32 s8, s6, s8
	s_lshl_b64 s[8:9], s[8:9], 1
	s_add_u32 s22, s22, s8
	s_addc_u32 s29, s23, s9
	s_abs_i32 s23, s21
	v_cvt_f32_u32_e32 v1, s23
	s_sub_i32 s9, 0, s23
	s_and_b32 s24, s27, 0xffff
	s_lshl_b32 s8, s21, 1
	v_rcp_iflag_f32_e32 v1, v1
	s_ashr_i32 s25, s21, 31
	s_sub_i32 s26, 0, s8
	v_lshlrev_b32_e32 v4, 1, v0
	v_mul_f32_e32 v1, 0x4f7ffffe, v1
	v_cvt_u32_f32_e32 v1, v1
	s_lshl_b32 s27, s24, 1
	s_sub_i32 s28, 0, s21
	v_mov_b32_e32 v5, s19
	v_mul_lo_u32 v3, s9, v1
	v_mul_hi_u32 v3, v1, v3
	v_add_u32_e32 v1, v1, v3
	s_mov_b64 s[8:9], 0
	v_mov_b32_e32 v3, s29
	v_mov_b32_e32 v7, s20
	v_mov_b32_e32 v6, v0
.LBB7_2:                                ; =>This Inner Loop Header: Depth=1
	v_sub_u32_e32 v9, 0, v6
	v_max_i32_e32 v9, v6, v9
	v_mul_hi_u32 v10, v9, v1
	v_mul_lo_u32 v11, v10, s23
	v_sub_u32_e32 v9, v9, v11
	v_add_u32_e32 v12, 1, v10
	v_cmp_le_u32_e32 vcc, s23, v9
	v_subrev_u32_e32 v11, s23, v9
	v_cndmask_b32_e32 v10, v10, v12, vcc
	v_cndmask_b32_e32 v9, v9, v11, vcc
	v_ashrrev_i32_e32 v8, 31, v6
	v_add_u32_e32 v11, 1, v10
	v_cmp_le_u32_e32 vcc, s23, v9
	v_xor_b32_e32 v8, s25, v8
	v_cndmask_b32_e32 v9, v10, v11, vcc
	v_xor_b32_e32 v9, v9, v8
	v_sub_u32_e32 v9, v9, v8
	v_mul_lo_u32 v8, v9, s14
	v_mad_u64_u32 v[10:11], s[30:31], s28, v9, v[6:7]
	v_mad_u64_u32 v[12:13], s[30:31], s26, v9, v[4:5]
	v_ashrrev_i32_e32 v9, 31, v8
	v_lshlrev_b64 v[8:9], 1, v[8:9]
	v_ashrrev_i32_e32 v11, 31, v10
	v_add_co_u32_e32 v14, vcc, s22, v8
	v_lshlrev_b64 v[10:11], 1, v[10:11]
	v_addc_co_u32_e32 v15, vcc, v3, v9, vcc
	v_add_co_u32_e32 v8, vcc, s15, v10
	v_addc_co_u32_e32 v9, vcc, v5, v11, vcc
	v_ashrrev_i32_e32 v13, 31, v12
	v_add_co_u32_e32 v10, vcc, s18, v10
	v_lshlrev_b64 v[12:13], 1, v[12:13]
	v_addc_co_u32_e32 v11, vcc, v7, v11, vcc
	global_load_ushort v16, v[8:9], off
	global_load_ushort v17, v[10:11], off
	v_add_co_u32_e32 v8, vcc, v14, v12
	v_addc_co_u32_e32 v9, vcc, v15, v13, vcc
	global_load_dword v10, v[8:9], off
	v_add_u32_e32 v6, s24, v6
	v_cmp_le_i32_e32 vcc, s12, v6
	v_add_u32_e32 v4, s27, v4
	s_or_b64 s[8:9], vcc, s[8:9]
	s_waitcnt vmcnt(0)
	v_mul_f16_sdwa v11, v17, v10 dst_sel:DWORD dst_unused:UNUSED_PAD src0_sel:DWORD src1_sel:WORD_1
	v_mul_f16_sdwa v12, v16, v10 dst_sel:DWORD dst_unused:UNUSED_PAD src0_sel:DWORD src1_sel:WORD_1
	v_fma_f16 v11, v16, v10, -v11
	v_fma_f16 v10, v17, v10, v12
	v_pack_b32_f16 v10, v11, v10
	global_store_dword v[8:9], v10, off
	s_andn2_b64 exec, exec, s[8:9]
	s_cbranch_execnz .LBB7_2
.LBB7_3:
	s_or_b64 exec, exec, s[16:17]
	s_mul_i32 s8, s21, s13
	v_cmp_gt_i32_e32 vcc, s8, v0
	s_and_saveexec_b64 s[12:13], vcc
	s_cbranch_execz .LBB7_6
; %bb.4:
	s_lshl_b64 s[2:3], s[2:3], 1
	s_add_u32 s2, s0, s2
	s_addc_u32 s3, s1, s3
	s_mul_i32 s0, s6, s11
	s_mul_hi_u32 s1, s6, s10
	s_add_i32 s0, s1, s0
	s_mul_i32 s1, s7, s10
	s_add_i32 s1, s0, s1
	s_mul_i32 s0, s6, s10
	s_lshl_b64 s[0:1], s[0:1], 1
	s_add_u32 s2, s2, s0
	s_addc_u32 s10, s3, s1
	s_abs_i32 s3, s21
	v_cvt_f32_u32_e32 v1, s3
	s_load_dword s0, s[4:5], 0x5c
	s_ashr_i32 s5, s21, 31
	s_sub_i32 s9, 0, s21
	v_rcp_iflag_f32_e32 v1, v1
	v_mov_b32_e32 v4, s19
	s_waitcnt lgkmcnt(0)
	s_and_b32 s4, s0, 0xffff
	s_sub_i32 s0, 0, s3
	v_mul_f32_e32 v1, 0x4f7ffffe, v1
	v_cvt_u32_f32_e32 v1, v1
	s_lshl_b32 s7, s4, 1
	v_mov_b32_e32 v5, s20
	v_mul_lo_u32 v3, s0, v1
	v_mul_hi_u32 v3, v1, v3
	s_lshl_b32 s0, s21, 1
	v_add_u32_e32 v1, v1, v3
	s_sub_i32 s6, 0, s0
	s_mov_b64 s[0:1], 0
	v_mov_b32_e32 v3, s10
.LBB7_5:                                ; =>This Inner Loop Header: Depth=1
	v_sub_u32_e32 v7, 0, v0
	v_max_i32_e32 v7, v0, v7
	v_mul_hi_u32 v8, v7, v1
	v_mul_lo_u32 v9, v8, s3
	v_sub_u32_e32 v7, v7, v9
	v_add_u32_e32 v10, 1, v8
	v_cmp_le_u32_e32 vcc, s3, v7
	v_subrev_u32_e32 v9, s3, v7
	v_cndmask_b32_e32 v8, v8, v10, vcc
	v_cndmask_b32_e32 v7, v7, v9, vcc
	v_ashrrev_i32_e32 v6, 31, v0
	v_add_u32_e32 v9, 1, v8
	v_cmp_le_u32_e32 vcc, s3, v7
	v_xor_b32_e32 v6, s5, v6
	v_cndmask_b32_e32 v7, v8, v9, vcc
	v_xor_b32_e32 v7, v7, v6
	v_sub_u32_e32 v7, v7, v6
	v_mul_lo_u32 v6, v7, s14
	v_mad_u64_u32 v[8:9], s[10:11], s9, v7, v[0:1]
	v_mad_u64_u32 v[10:11], s[10:11], s6, v7, v[2:3]
	v_ashrrev_i32_e32 v7, 31, v6
	v_lshlrev_b64 v[6:7], 1, v[6:7]
	v_ashrrev_i32_e32 v9, 31, v8
	v_add_co_u32_e32 v12, vcc, s2, v6
	v_lshlrev_b64 v[8:9], 1, v[8:9]
	v_addc_co_u32_e32 v13, vcc, v3, v7, vcc
	v_add_co_u32_e32 v6, vcc, s15, v8
	v_addc_co_u32_e32 v7, vcc, v4, v9, vcc
	v_ashrrev_i32_e32 v11, 31, v10
	v_add_co_u32_e32 v8, vcc, s18, v8
	v_lshlrev_b64 v[10:11], 1, v[10:11]
	v_addc_co_u32_e32 v9, vcc, v5, v9, vcc
	global_load_ushort v14, v[6:7], off
	global_load_ushort v15, v[8:9], off
	v_add_co_u32_e32 v6, vcc, v12, v10
	v_addc_co_u32_e32 v7, vcc, v13, v11, vcc
	global_load_dword v8, v[6:7], off
	v_add_u32_e32 v0, s4, v0
	v_cmp_le_i32_e32 vcc, s8, v0
	v_add_u32_e32 v2, s7, v2
	s_or_b64 s[0:1], vcc, s[0:1]
	s_waitcnt vmcnt(0)
	v_mul_f16_sdwa v9, v15, v8 dst_sel:DWORD dst_unused:UNUSED_PAD src0_sel:DWORD src1_sel:WORD_1
	v_mul_f16_sdwa v10, v14, v8 dst_sel:DWORD dst_unused:UNUSED_PAD src0_sel:DWORD src1_sel:WORD_1
	v_fma_f16 v9, v14, v8, -v9
	v_fma_f16 v8, v15, v8, v10
	v_pack_b32_f16 v8, v9, v8
	global_store_dword v[6:7], v8, off
	s_andn2_b64 exec, exec, s[0:1]
	s_cbranch_execnz .LBB7_5
.LBB7_6:
	s_endpgm
	.section	.rodata,"a",@progbits
	.p2align	6, 0x0
	.amdhsa_kernel _ZN4vllm23rotary_embedding_kernelIN3c104HalfELb0ELb1EEEvPKlPT_S6_PKS5_S8_illiii
		.amdhsa_group_segment_fixed_size 0
		.amdhsa_private_segment_fixed_size 0
		.amdhsa_kernarg_size 336
		.amdhsa_user_sgpr_count 6
		.amdhsa_user_sgpr_private_segment_buffer 1
		.amdhsa_user_sgpr_dispatch_ptr 0
		.amdhsa_user_sgpr_queue_ptr 0
		.amdhsa_user_sgpr_kernarg_segment_ptr 1
		.amdhsa_user_sgpr_dispatch_id 0
		.amdhsa_user_sgpr_flat_scratch_init 0
		.amdhsa_user_sgpr_kernarg_preload_length 0
		.amdhsa_user_sgpr_kernarg_preload_offset 0
		.amdhsa_user_sgpr_private_segment_size 0
		.amdhsa_uses_dynamic_stack 0
		.amdhsa_system_sgpr_private_segment_wavefront_offset 0
		.amdhsa_system_sgpr_workgroup_id_x 1
		.amdhsa_system_sgpr_workgroup_id_y 0
		.amdhsa_system_sgpr_workgroup_id_z 0
		.amdhsa_system_sgpr_workgroup_info 0
		.amdhsa_system_vgpr_workitem_id 0
		.amdhsa_next_free_vgpr 18
		.amdhsa_next_free_sgpr 32
		.amdhsa_accum_offset 20
		.amdhsa_reserve_vcc 1
		.amdhsa_reserve_flat_scratch 0
		.amdhsa_float_round_mode_32 0
		.amdhsa_float_round_mode_16_64 0
		.amdhsa_float_denorm_mode_32 3
		.amdhsa_float_denorm_mode_16_64 3
		.amdhsa_dx10_clamp 1
		.amdhsa_ieee_mode 1
		.amdhsa_fp16_overflow 0
		.amdhsa_tg_split 0
		.amdhsa_exception_fp_ieee_invalid_op 0
		.amdhsa_exception_fp_denorm_src 0
		.amdhsa_exception_fp_ieee_div_zero 0
		.amdhsa_exception_fp_ieee_overflow 0
		.amdhsa_exception_fp_ieee_underflow 0
		.amdhsa_exception_fp_ieee_inexact 0
		.amdhsa_exception_int_div_zero 0
	.end_amdhsa_kernel
	.section	.text._ZN4vllm23rotary_embedding_kernelIN3c104HalfELb0ELb1EEEvPKlPT_S6_PKS5_S8_illiii,"axG",@progbits,_ZN4vllm23rotary_embedding_kernelIN3c104HalfELb0ELb1EEEvPKlPT_S6_PKS5_S8_illiii,comdat
.Lfunc_end7:
	.size	_ZN4vllm23rotary_embedding_kernelIN3c104HalfELb0ELb1EEEvPKlPT_S6_PKS5_S8_illiii, .Lfunc_end7-_ZN4vllm23rotary_embedding_kernelIN3c104HalfELb0ELb1EEEvPKlPT_S6_PKS5_S8_illiii
                                        ; -- End function
	.section	.AMDGPU.csdata,"",@progbits
; Kernel info:
; codeLenInByte = 1052
; NumSgprs: 36
; NumVgprs: 18
; NumAgprs: 0
; TotalNumVgprs: 18
; ScratchSize: 0
; MemoryBound: 0
; FloatMode: 240
; IeeeMode: 1
; LDSByteSize: 0 bytes/workgroup (compile time only)
; SGPRBlocks: 4
; VGPRBlocks: 2
; NumSGPRsForWavesPerEU: 36
; NumVGPRsForWavesPerEU: 18
; AccumOffset: 20
; Occupancy: 8
; WaveLimiterHint : 1
; COMPUTE_PGM_RSRC2:SCRATCH_EN: 0
; COMPUTE_PGM_RSRC2:USER_SGPR: 6
; COMPUTE_PGM_RSRC2:TRAP_HANDLER: 0
; COMPUTE_PGM_RSRC2:TGID_X_EN: 1
; COMPUTE_PGM_RSRC2:TGID_Y_EN: 0
; COMPUTE_PGM_RSRC2:TGID_Z_EN: 0
; COMPUTE_PGM_RSRC2:TIDIG_COMP_CNT: 0
; COMPUTE_PGM_RSRC3_GFX90A:ACCUM_OFFSET: 4
; COMPUTE_PGM_RSRC3_GFX90A:TG_SPLIT: 0
	.section	.text._ZN4vllm23rotary_embedding_kernelIN3c104HalfELb0ELb0EEEvPKlPT_S6_PKS5_S8_illiii,"axG",@progbits,_ZN4vllm23rotary_embedding_kernelIN3c104HalfELb0ELb0EEEvPKlPT_S6_PKS5_S8_illiii,comdat
	.protected	_ZN4vllm23rotary_embedding_kernelIN3c104HalfELb0ELb0EEEvPKlPT_S6_PKS5_S8_illiii ; -- Begin function _ZN4vllm23rotary_embedding_kernelIN3c104HalfELb0ELb0EEEvPKlPT_S6_PKS5_S8_illiii
	.globl	_ZN4vllm23rotary_embedding_kernelIN3c104HalfELb0ELb0EEEvPKlPT_S6_PKS5_S8_illiii
	.p2align	8
	.type	_ZN4vllm23rotary_embedding_kernelIN3c104HalfELb0ELb0EEEvPKlPT_S6_PKS5_S8_illiii,@function
_ZN4vllm23rotary_embedding_kernelIN3c104HalfELb0ELb0EEEvPKlPT_S6_PKS5_S8_illiii: ; @_ZN4vllm23rotary_embedding_kernelIN3c104HalfELb0ELb0EEEvPKlPT_S6_PKS5_S8_illiii
; %bb.0:
	s_load_dword s22, s[4:5], 0x28
	s_load_dwordx2 s[8:9], s[4:5], 0x0
	s_load_dwordx4 s[0:3], s[4:5], 0x10
	s_ashr_i32 s7, s6, 31
	s_lshl_b64 s[10:11], s[6:7], 3
	s_waitcnt lgkmcnt(0)
	s_ashr_i32 s23, s22, 31
	s_add_u32 s16, s8, s10
	s_addc_u32 s17, s9, s11
	s_load_dwordx2 s[18:19], s[16:17], 0x0
	s_load_dwordx2 s[20:21], s[4:5], 0x20
	s_load_dwordx8 s[8:15], s[4:5], 0x30
	v_lshlrev_b32_e32 v2, 1, v0
	s_waitcnt lgkmcnt(0)
	s_mul_i32 s15, s18, s23
	s_mul_hi_u32 s16, s18, s22
	s_add_i32 s15, s16, s15
	s_mul_i32 s16, s19, s22
	s_add_i32 s15, s15, s16
	s_mul_i32 s16, s18, s22
	s_lshr_b32 s17, s15, 31
	s_add_u32 s16, s16, s17
	s_addc_u32 s18, s15, 0
	s_and_b32 s16, s16, -2
	s_add_u32 s15, s2, s16
	s_addc_u32 s17, s3, s18
	s_add_u32 s16, s20, s16
	s_addc_u32 s18, s21, s18
	s_lshr_b32 s2, s22, 31
	s_add_i32 s22, s22, s2
	s_ashr_i32 s19, s22, 1
	s_mul_i32 s12, s19, s12
	v_cmp_gt_i32_e32 vcc, s12, v0
	s_and_saveexec_b64 s[2:3], vcc
	s_cbranch_execz .LBB8_3
; %bb.1:
	s_mul_i32 s9, s6, s9
	s_mul_hi_u32 s20, s6, s8
	s_add_i32 s9, s20, s9
	s_load_dwordx2 s[20:21], s[4:5], 0x8
	s_mul_i32 s22, s7, s8
	s_add_i32 s9, s9, s22
	s_load_dword s22, s[4:5], 0x5c
	s_mul_i32 s8, s6, s8
	s_lshl_b64 s[8:9], s[8:9], 1
	s_waitcnt lgkmcnt(0)
	s_add_u32 s20, s20, s8
	s_addc_u32 s27, s21, s9
	s_abs_i32 s21, s19
	v_cvt_f32_u32_e32 v1, s21
	s_sub_i32 s9, 0, s21
	s_and_b32 s22, s22, 0xffff
	s_lshl_b32 s8, s19, 1
	v_rcp_iflag_f32_e32 v1, v1
	s_ashr_i32 s23, s19, 31
	s_sub_i32 s24, 0, s8
	v_lshlrev_b32_e32 v4, 1, v0
	v_mul_f32_e32 v1, 0x4f7ffffe, v1
	v_cvt_u32_f32_e32 v1, v1
	s_lshl_b32 s25, s22, 1
	s_sub_i32 s26, 0, s19
	v_mov_b32_e32 v5, s17
	v_mul_lo_u32 v3, s9, v1
	v_mul_hi_u32 v3, v1, v3
	v_add_u32_e32 v1, v1, v3
	s_mov_b64 s[8:9], 0
	v_mov_b32_e32 v3, s27
	v_mov_b32_e32 v7, s18
	;; [unrolled: 1-line block ×3, first 2 shown]
.LBB8_2:                                ; =>This Inner Loop Header: Depth=1
	v_sub_u32_e32 v9, 0, v6
	v_max_i32_e32 v9, v6, v9
	v_mul_hi_u32 v10, v9, v1
	v_mul_lo_u32 v11, v10, s21
	v_sub_u32_e32 v9, v9, v11
	v_add_u32_e32 v12, 1, v10
	v_cmp_le_u32_e32 vcc, s21, v9
	v_subrev_u32_e32 v11, s21, v9
	v_cndmask_b32_e32 v10, v10, v12, vcc
	v_cndmask_b32_e32 v9, v9, v11, vcc
	v_ashrrev_i32_e32 v8, 31, v6
	v_add_u32_e32 v11, 1, v10
	v_cmp_le_u32_e32 vcc, s21, v9
	v_xor_b32_e32 v8, s23, v8
	v_cndmask_b32_e32 v9, v10, v11, vcc
	v_xor_b32_e32 v9, v9, v8
	v_sub_u32_e32 v9, v9, v8
	v_mul_lo_u32 v8, v9, s14
	v_mad_u64_u32 v[10:11], s[28:29], s26, v9, v[6:7]
	v_mad_u64_u32 v[12:13], s[28:29], s24, v9, v[4:5]
	v_ashrrev_i32_e32 v9, 31, v8
	v_lshlrev_b64 v[8:9], 1, v[8:9]
	v_ashrrev_i32_e32 v11, 31, v10
	v_add_co_u32_e32 v14, vcc, s20, v8
	v_lshlrev_b64 v[10:11], 1, v[10:11]
	v_addc_co_u32_e32 v15, vcc, v3, v9, vcc
	v_add_co_u32_e32 v8, vcc, s15, v10
	v_addc_co_u32_e32 v9, vcc, v5, v11, vcc
	v_ashrrev_i32_e32 v13, 31, v12
	v_add_co_u32_e32 v10, vcc, s16, v10
	v_lshlrev_b64 v[12:13], 1, v[12:13]
	v_addc_co_u32_e32 v11, vcc, v7, v11, vcc
	global_load_ushort v16, v[8:9], off
	global_load_ushort v17, v[10:11], off
	v_add_co_u32_e32 v8, vcc, v14, v12
	v_addc_co_u32_e32 v9, vcc, v15, v13, vcc
	global_load_dword v10, v[8:9], off
	v_add_u32_e32 v6, s22, v6
	v_cmp_le_i32_e32 vcc, s12, v6
	v_add_u32_e32 v4, s25, v4
	s_or_b64 s[8:9], vcc, s[8:9]
	s_waitcnt vmcnt(0)
	v_mul_f16_sdwa v11, v17, v10 dst_sel:DWORD dst_unused:UNUSED_PAD src0_sel:DWORD src1_sel:WORD_1
	v_mul_f16_sdwa v12, v16, v10 dst_sel:DWORD dst_unused:UNUSED_PAD src0_sel:DWORD src1_sel:WORD_1
	v_fma_f16 v11, v16, v10, -v11
	v_fma_f16 v10, v17, v10, v12
	v_pack_b32_f16 v10, v11, v10
	global_store_dword v[8:9], v10, off
	s_andn2_b64 exec, exec, s[8:9]
	s_cbranch_execnz .LBB8_2
.LBB8_3:
	s_or_b64 exec, exec, s[2:3]
	s_mul_i32 s2, s19, s13
	v_cmp_gt_i32_e32 vcc, s2, v0
	s_and_saveexec_b64 s[8:9], vcc
	s_cbranch_execz .LBB8_6
; %bb.4:
	s_mul_i32 s3, s6, s11
	s_mul_hi_u32 s8, s6, s10
	s_add_i32 s3, s8, s3
	s_mul_i32 s7, s7, s10
	s_add_i32 s7, s3, s7
	s_mul_i32 s6, s6, s10
	s_lshl_b64 s[6:7], s[6:7], 1
	s_add_u32 s3, s0, s6
	s_addc_u32 s10, s1, s7
	s_abs_i32 s6, s19
	v_cvt_f32_u32_e32 v1, s6
	s_load_dword s0, s[4:5], 0x5c
	s_sub_i32 s1, 0, s6
	s_ashr_i32 s5, s19, 31
	v_rcp_iflag_f32_e32 v1, v1
	s_sub_i32 s9, 0, s19
	s_waitcnt lgkmcnt(0)
	s_and_b32 s4, s0, 0xffff
	s_lshl_b32 s0, s19, 1
	v_mul_f32_e32 v1, 0x4f7ffffe, v1
	v_cvt_u32_f32_e32 v1, v1
	s_sub_i32 s7, 0, s0
	s_lshl_b32 s8, s4, 1
	v_mov_b32_e32 v4, s17
	v_mul_lo_u32 v3, s1, v1
	v_mul_hi_u32 v3, v1, v3
	v_add_u32_e32 v1, v1, v3
	s_mov_b64 s[0:1], 0
	v_mov_b32_e32 v3, s10
	v_mov_b32_e32 v5, s18
.LBB8_5:                                ; =>This Inner Loop Header: Depth=1
	v_sub_u32_e32 v7, 0, v0
	v_max_i32_e32 v7, v0, v7
	v_mul_hi_u32 v8, v7, v1
	v_mul_lo_u32 v9, v8, s6
	v_sub_u32_e32 v7, v7, v9
	v_add_u32_e32 v10, 1, v8
	v_cmp_le_u32_e32 vcc, s6, v7
	v_subrev_u32_e32 v9, s6, v7
	v_cndmask_b32_e32 v8, v8, v10, vcc
	v_cndmask_b32_e32 v7, v7, v9, vcc
	v_ashrrev_i32_e32 v6, 31, v0
	v_add_u32_e32 v9, 1, v8
	v_cmp_le_u32_e32 vcc, s6, v7
	v_xor_b32_e32 v6, s5, v6
	v_cndmask_b32_e32 v7, v8, v9, vcc
	v_xor_b32_e32 v7, v7, v6
	v_sub_u32_e32 v7, v7, v6
	v_mul_lo_u32 v6, v7, s14
	v_mad_u64_u32 v[8:9], s[10:11], s9, v7, v[0:1]
	v_mad_u64_u32 v[10:11], s[10:11], s7, v7, v[2:3]
	v_ashrrev_i32_e32 v7, 31, v6
	v_lshlrev_b64 v[6:7], 1, v[6:7]
	v_ashrrev_i32_e32 v9, 31, v8
	v_add_co_u32_e32 v12, vcc, s3, v6
	v_lshlrev_b64 v[8:9], 1, v[8:9]
	v_addc_co_u32_e32 v13, vcc, v3, v7, vcc
	v_add_co_u32_e32 v6, vcc, s15, v8
	v_addc_co_u32_e32 v7, vcc, v4, v9, vcc
	v_ashrrev_i32_e32 v11, 31, v10
	v_add_co_u32_e32 v8, vcc, s16, v8
	v_lshlrev_b64 v[10:11], 1, v[10:11]
	v_addc_co_u32_e32 v9, vcc, v5, v9, vcc
	global_load_ushort v14, v[6:7], off
	global_load_ushort v15, v[8:9], off
	v_add_co_u32_e32 v6, vcc, v12, v10
	v_addc_co_u32_e32 v7, vcc, v13, v11, vcc
	global_load_dword v8, v[6:7], off
	v_add_u32_e32 v0, s4, v0
	v_cmp_le_i32_e32 vcc, s2, v0
	v_add_u32_e32 v2, s8, v2
	s_or_b64 s[0:1], vcc, s[0:1]
	s_waitcnt vmcnt(0)
	v_mul_f16_sdwa v9, v15, v8 dst_sel:DWORD dst_unused:UNUSED_PAD src0_sel:DWORD src1_sel:WORD_1
	v_mul_f16_sdwa v10, v14, v8 dst_sel:DWORD dst_unused:UNUSED_PAD src0_sel:DWORD src1_sel:WORD_1
	v_fma_f16 v9, v14, v8, -v9
	v_fma_f16 v8, v15, v8, v10
	v_pack_b32_f16 v8, v9, v8
	global_store_dword v[6:7], v8, off
	s_andn2_b64 exec, exec, s[0:1]
	s_cbranch_execnz .LBB8_5
.LBB8_6:
	s_endpgm
	.section	.rodata,"a",@progbits
	.p2align	6, 0x0
	.amdhsa_kernel _ZN4vllm23rotary_embedding_kernelIN3c104HalfELb0ELb0EEEvPKlPT_S6_PKS5_S8_illiii
		.amdhsa_group_segment_fixed_size 0
		.amdhsa_private_segment_fixed_size 0
		.amdhsa_kernarg_size 336
		.amdhsa_user_sgpr_count 6
		.amdhsa_user_sgpr_private_segment_buffer 1
		.amdhsa_user_sgpr_dispatch_ptr 0
		.amdhsa_user_sgpr_queue_ptr 0
		.amdhsa_user_sgpr_kernarg_segment_ptr 1
		.amdhsa_user_sgpr_dispatch_id 0
		.amdhsa_user_sgpr_flat_scratch_init 0
		.amdhsa_user_sgpr_kernarg_preload_length 0
		.amdhsa_user_sgpr_kernarg_preload_offset 0
		.amdhsa_user_sgpr_private_segment_size 0
		.amdhsa_uses_dynamic_stack 0
		.amdhsa_system_sgpr_private_segment_wavefront_offset 0
		.amdhsa_system_sgpr_workgroup_id_x 1
		.amdhsa_system_sgpr_workgroup_id_y 0
		.amdhsa_system_sgpr_workgroup_id_z 0
		.amdhsa_system_sgpr_workgroup_info 0
		.amdhsa_system_vgpr_workitem_id 0
		.amdhsa_next_free_vgpr 18
		.amdhsa_next_free_sgpr 30
		.amdhsa_accum_offset 20
		.amdhsa_reserve_vcc 1
		.amdhsa_reserve_flat_scratch 0
		.amdhsa_float_round_mode_32 0
		.amdhsa_float_round_mode_16_64 0
		.amdhsa_float_denorm_mode_32 3
		.amdhsa_float_denorm_mode_16_64 3
		.amdhsa_dx10_clamp 1
		.amdhsa_ieee_mode 1
		.amdhsa_fp16_overflow 0
		.amdhsa_tg_split 0
		.amdhsa_exception_fp_ieee_invalid_op 0
		.amdhsa_exception_fp_denorm_src 0
		.amdhsa_exception_fp_ieee_div_zero 0
		.amdhsa_exception_fp_ieee_overflow 0
		.amdhsa_exception_fp_ieee_underflow 0
		.amdhsa_exception_fp_ieee_inexact 0
		.amdhsa_exception_int_div_zero 0
	.end_amdhsa_kernel
	.section	.text._ZN4vllm23rotary_embedding_kernelIN3c104HalfELb0ELb0EEEvPKlPT_S6_PKS5_S8_illiii,"axG",@progbits,_ZN4vllm23rotary_embedding_kernelIN3c104HalfELb0ELb0EEEvPKlPT_S6_PKS5_S8_illiii,comdat
.Lfunc_end8:
	.size	_ZN4vllm23rotary_embedding_kernelIN3c104HalfELb0ELb0EEEvPKlPT_S6_PKS5_S8_illiii, .Lfunc_end8-_ZN4vllm23rotary_embedding_kernelIN3c104HalfELb0ELb0EEEvPKlPT_S6_PKS5_S8_illiii
                                        ; -- End function
	.section	.AMDGPU.csdata,"",@progbits
; Kernel info:
; codeLenInByte = 1020
; NumSgprs: 34
; NumVgprs: 18
; NumAgprs: 0
; TotalNumVgprs: 18
; ScratchSize: 0
; MemoryBound: 0
; FloatMode: 240
; IeeeMode: 1
; LDSByteSize: 0 bytes/workgroup (compile time only)
; SGPRBlocks: 4
; VGPRBlocks: 2
; NumSGPRsForWavesPerEU: 34
; NumVGPRsForWavesPerEU: 18
; AccumOffset: 20
; Occupancy: 8
; WaveLimiterHint : 1
; COMPUTE_PGM_RSRC2:SCRATCH_EN: 0
; COMPUTE_PGM_RSRC2:USER_SGPR: 6
; COMPUTE_PGM_RSRC2:TRAP_HANDLER: 0
; COMPUTE_PGM_RSRC2:TGID_X_EN: 1
; COMPUTE_PGM_RSRC2:TGID_Y_EN: 0
; COMPUTE_PGM_RSRC2:TGID_Z_EN: 0
; COMPUTE_PGM_RSRC2:TIDIG_COMP_CNT: 0
; COMPUTE_PGM_RSRC3_GFX90A:ACCUM_OFFSET: 4
; COMPUTE_PGM_RSRC3_GFX90A:TG_SPLIT: 0
	.section	.text._ZN4vllm23rotary_embedding_kernelIN3c108BFloat16ELb1ELb1EEEvPKlPT_S6_PKS5_S8_illiii,"axG",@progbits,_ZN4vllm23rotary_embedding_kernelIN3c108BFloat16ELb1ELb1EEEvPKlPT_S6_PKS5_S8_illiii,comdat
	.protected	_ZN4vllm23rotary_embedding_kernelIN3c108BFloat16ELb1ELb1EEEvPKlPT_S6_PKS5_S8_illiii ; -- Begin function _ZN4vllm23rotary_embedding_kernelIN3c108BFloat16ELb1ELb1EEEvPKlPT_S6_PKS5_S8_illiii
	.globl	_ZN4vllm23rotary_embedding_kernelIN3c108BFloat16ELb1ELb1EEEvPKlPT_S6_PKS5_S8_illiii
	.p2align	8
	.type	_ZN4vllm23rotary_embedding_kernelIN3c108BFloat16ELb1ELb1EEEvPKlPT_S6_PKS5_S8_illiii,@function
_ZN4vllm23rotary_embedding_kernelIN3c108BFloat16ELb1ELb1EEEvPKlPT_S6_PKS5_S8_illiii: ; @_ZN4vllm23rotary_embedding_kernelIN3c108BFloat16ELb1ELb1EEEvPKlPT_S6_PKS5_S8_illiii
; %bb.0:
	s_load_dword s22, s[4:5], 0x28
	s_load_dwordx2 s[0:1], s[4:5], 0x0
	s_load_dwordx4 s[16:19], s[4:5], 0x10
	s_ashr_i32 s7, s6, 31
	s_lshl_b64 s[2:3], s[6:7], 3
	s_waitcnt lgkmcnt(0)
	s_ashr_i32 s23, s22, 31
	s_add_u32 s0, s0, s2
	s_addc_u32 s1, s1, s3
	s_load_dwordx2 s[2:3], s[0:1], 0x0
	s_load_dwordx2 s[20:21], s[4:5], 0x20
	s_load_dwordx8 s[8:15], s[4:5], 0x30
	s_waitcnt lgkmcnt(0)
	s_mul_i32 s0, s2, s23
	s_mul_hi_u32 s1, s2, s22
	s_add_i32 s0, s1, s0
	s_mul_i32 s1, s3, s22
	s_add_i32 s0, s0, s1
	s_mul_i32 s1, s2, s22
	s_lshr_b32 s2, s0, 31
	s_add_u32 s1, s1, s2
	s_addc_u32 s0, s0, 0
	s_and_b32 s1, s1, -2
	s_add_u32 s15, s18, s1
	s_addc_u32 s29, s19, s0
	s_add_u32 s28, s20, s1
	s_addc_u32 s30, s21, s0
	s_lshr_b32 s0, s22, 31
	s_add_i32 s0, s22, s0
	s_ashr_i32 s18, s0, 1
	s_mul_i32 s12, s18, s12
	s_sub_i32 s20, s14, s22
	s_ashr_i32 s21, s20, 31
	v_cmp_gt_i32_e32 vcc, s12, v0
	s_and_saveexec_b64 s[22:23], vcc
	s_cbranch_execz .LBB9_3
; %bb.1:
	s_load_dwordx2 s[0:1], s[4:5], 0x8
	s_load_dword s26, s[4:5], 0x5c
	s_lshl_b64 s[2:3], s[20:21], 1
	s_mul_i32 s9, s6, s9
	s_mul_hi_u32 s19, s6, s8
	s_waitcnt lgkmcnt(0)
	s_add_u32 s2, s0, s2
	s_addc_u32 s3, s1, s3
	s_add_i32 s0, s19, s9
	s_mul_i32 s1, s7, s8
	s_add_i32 s1, s0, s1
	s_mul_i32 s0, s6, s8
	s_lshl_b64 s[0:1], s[0:1], 1
	s_add_u32 s31, s2, s0
	s_addc_u32 s0, s3, s1
	s_abs_i32 s33, s18
	v_cvt_f32_u32_e32 v1, s33
	s_sub_i32 s1, 0, s33
	s_ashr_i32 s19, s18, 31
	s_and_b32 s34, s26, 0xffff
	v_rcp_iflag_f32_e32 v1, v1
	s_lshl_b64 s[26:27], s[18:19], 1
	s_mov_b64 s[24:25], 0
	s_sub_i32 s35, 0, s18
	v_mul_f32_e32 v1, 0x4f7ffffe, v1
	v_cvt_u32_f32_e32 v1, v1
	v_mov_b32_e32 v3, s0
	v_mov_b32_e32 v8, s29
	;; [unrolled: 1-line block ×3, first 2 shown]
	v_mul_lo_u32 v2, s1, v1
	v_mul_hi_u32 v2, v1, v2
	v_add_u32_e32 v1, v1, v2
	v_mov_b32_e32 v10, s27
	s_movk_i32 s27, 0x7fff
	v_mov_b32_e32 v11, 0x7fc0
	s_mov_b32 s36, 0x5040100
	s_mov_b32 s37, 0x800ff
	;; [unrolled: 1-line block ×3, first 2 shown]
	v_mov_b32_e32 v2, v0
.LBB9_2:                                ; =>This Inner Loop Header: Depth=1
	v_sub_u32_e32 v5, 0, v2
	v_max_i32_e32 v5, v2, v5
	v_mul_hi_u32 v6, v5, v1
	v_mul_lo_u32 v7, v6, s33
	v_sub_u32_e32 v5, v5, v7
	v_add_u32_e32 v12, 1, v6
	v_cmp_le_u32_e32 vcc, s33, v5
	v_subrev_u32_e32 v7, s33, v5
	v_cndmask_b32_e32 v6, v6, v12, vcc
	v_cndmask_b32_e32 v5, v5, v7, vcc
	v_ashrrev_i32_e32 v4, 31, v2
	v_add_u32_e32 v7, 1, v6
	v_cmp_le_u32_e32 vcc, s33, v5
	v_xor_b32_e32 v4, s19, v4
	v_cndmask_b32_e32 v5, v6, v7, vcc
	v_xor_b32_e32 v5, v5, v4
	v_sub_u32_e32 v5, v5, v4
	v_mul_lo_u32 v4, v5, s14
	v_mad_u64_u32 v[6:7], s[0:1], s35, v5, v[2:3]
	v_ashrrev_i32_e32 v5, 31, v4
	v_lshlrev_b64 v[4:5], 1, v[4:5]
	v_ashrrev_i32_e32 v7, 31, v6
	v_add_co_u32_e32 v14, vcc, s31, v4
	v_lshlrev_b64 v[6:7], 1, v[6:7]
	v_addc_co_u32_e32 v15, vcc, v3, v5, vcc
	v_add_co_u32_e32 v4, vcc, s15, v6
	v_addc_co_u32_e32 v5, vcc, v8, v7, vcc
	v_add_co_u32_e32 v12, vcc, s28, v6
	v_addc_co_u32_e32 v13, vcc, v9, v7, vcc
	global_load_ushort v16, v[4:5], off
	global_load_ushort v17, v[12:13], off
	v_add_co_u32_e32 v4, vcc, v14, v6
	v_addc_co_u32_e32 v5, vcc, v15, v7, vcc
	v_add_co_u32_e32 v6, vcc, s26, v4
	v_addc_co_u32_e32 v7, vcc, v5, v10, vcc
	global_load_ushort v12, v[4:5], off
	global_load_ushort v13, v[6:7], off
	v_add_u32_e32 v2, s34, v2
	v_cmp_le_i32_e32 vcc, s12, v2
	s_or_b64 s[24:25], vcc, s[24:25]
	s_waitcnt vmcnt(3)
	v_lshrrev_b16_e32 v14, 8, v16
	v_and_b32_e32 v15, 0xff, v16
	s_waitcnt vmcnt(2)
	v_lshrrev_b16_e32 v16, 8, v17
	v_and_b32_e32 v17, 0xff, v17
	v_lshlrev_b32_e32 v17, 16, v17
	v_lshlrev_b32_e32 v15, 16, v15
	s_waitcnt vmcnt(1)
	v_lshrrev_b16_e32 v18, 8, v12
	v_and_b32_e32 v12, 0xff, v12
	s_waitcnt vmcnt(0)
	v_and_b32_e32 v20, 0xff, v13
	v_lshrrev_b16_e32 v19, 8, v13
	v_lshlrev_b32_e32 v21, 16, v12
	v_lshl_or_b32 v13, v14, 24, v15
	v_lshl_or_b32 v12, v16, 24, v17
	v_lshlrev_b32_e32 v15, 16, v20
	v_lshl_or_b32 v14, v18, 24, v21
	v_mov_b32_e32 v16, v13
	v_mov_b32_e32 v17, v12
	v_lshl_or_b32 v15, v19, 24, v15
	v_pk_mul_f32 v[16:17], v[16:17], v[14:15]
	v_pk_mul_f32 v[12:13], v[12:13], v[14:15]
	v_bfe_u32 v14, v16, 16, 1
	v_bfe_u32 v15, v17, 16, 1
	;; [unrolled: 1-line block ×4, first 2 shown]
	v_add3_u32 v15, v17, v15, s27
	v_add3_u32 v14, v16, v14, s27
	;; [unrolled: 1-line block ×4, first 2 shown]
	v_lshrrev_b32_e32 v14, 16, v14
	v_lshrrev_b32_e32 v15, 16, v15
	v_cmp_o_f32_e32 vcc, v17, v17
	v_cmp_o_f32_e64 s[8:9], v16, v16
	v_lshrrev_b32_e32 v17, 16, v18
	v_lshrrev_b32_e32 v18, 16, v19
	v_cmp_o_f32_e64 s[0:1], v12, v12
	v_cmp_o_f32_e64 s[2:3], v13, v13
	v_cndmask_b32_e64 v12, v11, v14, s[8:9]
	v_cndmask_b32_e32 v13, v11, v15, vcc
	v_cndmask_b32_e64 v14, v11, v17, s[0:1]
	v_cndmask_b32_e64 v15, v11, v18, s[2:3]
	v_perm_b32 v12, v13, v12, s36
	v_perm_b32 v13, v15, v14, s36
	v_and_b32_e32 v14, 0xff, v12
	v_pk_lshrrev_b16 v15, s37, v12
	v_pk_lshrrev_b16 v16, s38, v12
	v_and_b32_e32 v12, 0xff0000, v12
	v_and_b32_e32 v18, 0xff0000, v13
	v_and_b32_e32 v19, 0xff, v13
	v_and_b32_e32 v12, 0xffff0000, v12
	v_lshlrev_b32_e32 v14, 16, v14
	v_pk_lshrrev_b16 v17, s38, v13
	v_pk_lshrrev_b16 v13, s37, v13
	v_lshlrev_b32_e32 v19, 16, v19
	v_and_b32_e32 v18, 0xffff0000, v18
	v_lshl_or_b32 v12, v15, 8, v12
	v_lshl_or_b32 v14, v16, 24, v14
	;; [unrolled: 1-line block ×4, first 2 shown]
	v_sub_f32_e32 v12, v14, v12
	v_add_f32_e32 v13, v13, v15
	v_bfe_u32 v14, v12, 16, 1
	v_bfe_u32 v15, v13, 16, 1
	v_add3_u32 v14, v12, v14, s27
	v_add3_u32 v15, v13, v15, s27
	v_lshrrev_b32_e32 v14, 16, v14
	v_cmp_o_f32_e64 s[0:1], v12, v12
	v_lshrrev_b32_e32 v15, 16, v15
	v_cmp_o_f32_e32 vcc, v13, v13
	v_cndmask_b32_e64 v12, v11, v14, s[0:1]
	v_cndmask_b32_e32 v13, v11, v15, vcc
	global_store_short v[4:5], v12, off
	global_store_short v[6:7], v13, off
	s_andn2_b64 exec, exec, s[24:25]
	s_cbranch_execnz .LBB9_2
.LBB9_3:
	s_or_b64 exec, exec, s[22:23]
	s_mul_i32 s12, s18, s13
	v_cmp_gt_i32_e32 vcc, s12, v0
	s_and_saveexec_b64 s[0:1], vcc
	s_cbranch_execz .LBB9_6
; %bb.4:
	s_lshl_b64 s[0:1], s[20:21], 1
	s_add_u32 s2, s16, s0
	s_addc_u32 s3, s17, s1
	s_mul_i32 s0, s6, s11
	s_mul_hi_u32 s1, s6, s10
	s_add_i32 s0, s1, s0
	s_mul_i32 s1, s7, s10
	s_add_i32 s1, s0, s1
	s_mul_i32 s0, s6, s10
	s_lshl_b64 s[0:1], s[0:1], 1
	s_add_u32 s10, s2, s0
	s_addc_u32 s0, s3, s1
	s_abs_i32 s11, s18
	v_cvt_f32_u32_e32 v1, s11
	s_load_dword s1, s[4:5], 0x5c
	s_ashr_i32 s19, s18, 31
	s_lshl_b64 s[8:9], s[18:19], 1
	v_rcp_iflag_f32_e32 v1, v1
	s_sub_i32 s16, 0, s18
	s_waitcnt lgkmcnt(0)
	s_and_b32 s13, s1, 0xffff
	s_sub_i32 s1, 0, s11
	v_mul_f32_e32 v1, 0x4f7ffffe, v1
	v_cvt_u32_f32_e32 v1, v1
	s_mov_b64 s[6:7], 0
	v_mov_b32_e32 v6, s0
	v_mov_b32_e32 v7, s29
	v_mul_lo_u32 v2, s1, v1
	v_mul_hi_u32 v2, v1, v2
	v_add_u32_e32 v1, v1, v2
	v_mov_b32_e32 v8, s30
	v_mov_b32_e32 v9, s9
	s_movk_i32 s9, 0x7fff
	v_mov_b32_e32 v10, 0x7fc0
	s_mov_b32 s17, 0x5040100
	s_mov_b32 s18, 0x800ff
	;; [unrolled: 1-line block ×3, first 2 shown]
.LBB9_5:                                ; =>This Inner Loop Header: Depth=1
	v_sub_u32_e32 v3, 0, v0
	v_max_i32_e32 v3, v0, v3
	v_mul_hi_u32 v4, v3, v1
	v_mul_lo_u32 v5, v4, s11
	v_sub_u32_e32 v3, v3, v5
	v_add_u32_e32 v11, 1, v4
	v_cmp_le_u32_e32 vcc, s11, v3
	v_subrev_u32_e32 v5, s11, v3
	v_cndmask_b32_e32 v4, v4, v11, vcc
	v_cndmask_b32_e32 v3, v3, v5, vcc
	v_ashrrev_i32_e32 v2, 31, v0
	v_add_u32_e32 v5, 1, v4
	v_cmp_le_u32_e32 vcc, s11, v3
	v_xor_b32_e32 v2, s19, v2
	v_cndmask_b32_e32 v3, v4, v5, vcc
	v_xor_b32_e32 v3, v3, v2
	v_sub_u32_e32 v3, v3, v2
	v_mul_lo_u32 v2, v3, s14
	v_mad_u64_u32 v[4:5], s[0:1], s16, v3, v[0:1]
	v_ashrrev_i32_e32 v3, 31, v2
	v_lshlrev_b64 v[2:3], 1, v[2:3]
	v_ashrrev_i32_e32 v5, 31, v4
	v_add_co_u32_e32 v11, vcc, s10, v2
	v_lshlrev_b64 v[4:5], 1, v[4:5]
	v_addc_co_u32_e32 v14, vcc, v6, v3, vcc
	v_add_co_u32_e32 v2, vcc, s15, v4
	v_addc_co_u32_e32 v3, vcc, v7, v5, vcc
	v_add_co_u32_e32 v12, vcc, s28, v4
	v_addc_co_u32_e32 v13, vcc, v8, v5, vcc
	global_load_ushort v15, v[2:3], off
	global_load_ushort v16, v[12:13], off
	v_add_co_u32_e32 v2, vcc, v11, v4
	v_addc_co_u32_e32 v3, vcc, v14, v5, vcc
	v_add_co_u32_e32 v4, vcc, s8, v2
	v_addc_co_u32_e32 v5, vcc, v3, v9, vcc
	global_load_ushort v11, v[2:3], off
	global_load_ushort v12, v[4:5], off
	v_add_u32_e32 v0, s13, v0
	v_cmp_le_i32_e32 vcc, s12, v0
	s_or_b64 s[6:7], vcc, s[6:7]
	s_waitcnt vmcnt(3)
	v_lshrrev_b16_e32 v13, 8, v15
	v_and_b32_e32 v14, 0xff, v15
	s_waitcnt vmcnt(2)
	v_lshrrev_b16_e32 v15, 8, v16
	v_and_b32_e32 v16, 0xff, v16
	v_lshlrev_b32_e32 v16, 16, v16
	v_lshlrev_b32_e32 v14, 16, v14
	v_lshl_or_b32 v13, v13, 24, v14
	s_waitcnt vmcnt(1)
	v_lshrrev_b16_e32 v17, 8, v11
	v_and_b32_e32 v11, 0xff, v11
	s_waitcnt vmcnt(0)
	v_and_b32_e32 v19, 0xff, v12
	v_lshrrev_b16_e32 v18, 8, v12
	v_lshlrev_b32_e32 v11, 16, v11
	v_lshl_or_b32 v12, v15, 24, v16
	v_lshlrev_b32_e32 v15, 16, v19
	v_lshl_or_b32 v14, v17, 24, v11
	v_mov_b32_e32 v16, v13
	v_mov_b32_e32 v17, v12
	v_lshl_or_b32 v15, v18, 24, v15
	v_pk_mul_f32 v[16:17], v[16:17], v[14:15]
	v_pk_mul_f32 v[12:13], v[12:13], v[14:15]
	v_bfe_u32 v11, v16, 16, 1
	v_bfe_u32 v14, v17, 16, 1
	;; [unrolled: 1-line block ×4, first 2 shown]
	v_add3_u32 v14, v17, v14, s9
	v_add3_u32 v11, v16, v11, s9
	;; [unrolled: 1-line block ×4, first 2 shown]
	v_lshrrev_b32_e32 v11, 16, v11
	v_lshrrev_b32_e32 v14, 16, v14
	v_cmp_o_f32_e32 vcc, v17, v17
	v_cmp_o_f32_e64 s[4:5], v16, v16
	v_lshrrev_b32_e32 v15, 16, v15
	v_lshrrev_b32_e32 v17, 16, v18
	v_cmp_o_f32_e64 s[0:1], v12, v12
	v_cmp_o_f32_e64 s[2:3], v13, v13
	v_cndmask_b32_e64 v11, v10, v11, s[4:5]
	v_cndmask_b32_e32 v12, v10, v14, vcc
	v_cndmask_b32_e64 v13, v10, v15, s[0:1]
	v_cndmask_b32_e64 v14, v10, v17, s[2:3]
	v_perm_b32 v11, v12, v11, s17
	v_perm_b32 v12, v14, v13, s17
	v_and_b32_e32 v13, 0xff, v11
	v_pk_lshrrev_b16 v14, s18, v11
	v_pk_lshrrev_b16 v15, s20, v11
	v_and_b32_e32 v11, 0xff0000, v11
	v_and_b32_e32 v17, 0xff0000, v12
	;; [unrolled: 1-line block ×4, first 2 shown]
	v_lshlrev_b32_e32 v13, 16, v13
	v_pk_lshrrev_b16 v16, s20, v12
	v_pk_lshrrev_b16 v12, s18, v12
	v_lshlrev_b32_e32 v18, 16, v18
	v_and_b32_e32 v17, 0xffff0000, v17
	v_lshl_or_b32 v11, v14, 8, v11
	v_lshl_or_b32 v13, v15, 24, v13
	;; [unrolled: 1-line block ×4, first 2 shown]
	v_sub_f32_e32 v11, v13, v11
	v_add_f32_e32 v12, v12, v14
	v_bfe_u32 v13, v11, 16, 1
	v_bfe_u32 v14, v12, 16, 1
	v_add3_u32 v13, v11, v13, s9
	v_add3_u32 v14, v12, v14, s9
	v_lshrrev_b32_e32 v13, 16, v13
	v_cmp_o_f32_e64 s[0:1], v11, v11
	v_lshrrev_b32_e32 v14, 16, v14
	v_cmp_o_f32_e32 vcc, v12, v12
	v_cndmask_b32_e64 v11, v10, v13, s[0:1]
	v_cndmask_b32_e32 v12, v10, v14, vcc
	global_store_short v[2:3], v11, off
	global_store_short v[4:5], v12, off
	s_andn2_b64 exec, exec, s[6:7]
	s_cbranch_execnz .LBB9_5
.LBB9_6:
	s_endpgm
	.section	.rodata,"a",@progbits
	.p2align	6, 0x0
	.amdhsa_kernel _ZN4vllm23rotary_embedding_kernelIN3c108BFloat16ELb1ELb1EEEvPKlPT_S6_PKS5_S8_illiii
		.amdhsa_group_segment_fixed_size 0
		.amdhsa_private_segment_fixed_size 0
		.amdhsa_kernarg_size 336
		.amdhsa_user_sgpr_count 6
		.amdhsa_user_sgpr_private_segment_buffer 1
		.amdhsa_user_sgpr_dispatch_ptr 0
		.amdhsa_user_sgpr_queue_ptr 0
		.amdhsa_user_sgpr_kernarg_segment_ptr 1
		.amdhsa_user_sgpr_dispatch_id 0
		.amdhsa_user_sgpr_flat_scratch_init 0
		.amdhsa_user_sgpr_kernarg_preload_length 0
		.amdhsa_user_sgpr_kernarg_preload_offset 0
		.amdhsa_user_sgpr_private_segment_size 0
		.amdhsa_uses_dynamic_stack 0
		.amdhsa_system_sgpr_private_segment_wavefront_offset 0
		.amdhsa_system_sgpr_workgroup_id_x 1
		.amdhsa_system_sgpr_workgroup_id_y 0
		.amdhsa_system_sgpr_workgroup_id_z 0
		.amdhsa_system_sgpr_workgroup_info 0
		.amdhsa_system_vgpr_workitem_id 0
		.amdhsa_next_free_vgpr 22
		.amdhsa_next_free_sgpr 39
		.amdhsa_accum_offset 24
		.amdhsa_reserve_vcc 1
		.amdhsa_reserve_flat_scratch 0
		.amdhsa_float_round_mode_32 0
		.amdhsa_float_round_mode_16_64 0
		.amdhsa_float_denorm_mode_32 3
		.amdhsa_float_denorm_mode_16_64 3
		.amdhsa_dx10_clamp 1
		.amdhsa_ieee_mode 1
		.amdhsa_fp16_overflow 0
		.amdhsa_tg_split 0
		.amdhsa_exception_fp_ieee_invalid_op 0
		.amdhsa_exception_fp_denorm_src 0
		.amdhsa_exception_fp_ieee_div_zero 0
		.amdhsa_exception_fp_ieee_overflow 0
		.amdhsa_exception_fp_ieee_underflow 0
		.amdhsa_exception_fp_ieee_inexact 0
		.amdhsa_exception_int_div_zero 0
	.end_amdhsa_kernel
	.section	.text._ZN4vllm23rotary_embedding_kernelIN3c108BFloat16ELb1ELb1EEEvPKlPT_S6_PKS5_S8_illiii,"axG",@progbits,_ZN4vllm23rotary_embedding_kernelIN3c108BFloat16ELb1ELb1EEEvPKlPT_S6_PKS5_S8_illiii,comdat
.Lfunc_end9:
	.size	_ZN4vllm23rotary_embedding_kernelIN3c108BFloat16ELb1ELb1EEEvPKlPT_S6_PKS5_S8_illiii, .Lfunc_end9-_ZN4vllm23rotary_embedding_kernelIN3c108BFloat16ELb1ELb1EEEvPKlPT_S6_PKS5_S8_illiii
                                        ; -- End function
	.section	.AMDGPU.csdata,"",@progbits
; Kernel info:
; codeLenInByte = 1980
; NumSgprs: 43
; NumVgprs: 22
; NumAgprs: 0
; TotalNumVgprs: 22
; ScratchSize: 0
; MemoryBound: 0
; FloatMode: 240
; IeeeMode: 1
; LDSByteSize: 0 bytes/workgroup (compile time only)
; SGPRBlocks: 5
; VGPRBlocks: 2
; NumSGPRsForWavesPerEU: 43
; NumVGPRsForWavesPerEU: 22
; AccumOffset: 24
; Occupancy: 8
; WaveLimiterHint : 1
; COMPUTE_PGM_RSRC2:SCRATCH_EN: 0
; COMPUTE_PGM_RSRC2:USER_SGPR: 6
; COMPUTE_PGM_RSRC2:TRAP_HANDLER: 0
; COMPUTE_PGM_RSRC2:TGID_X_EN: 1
; COMPUTE_PGM_RSRC2:TGID_Y_EN: 0
; COMPUTE_PGM_RSRC2:TGID_Z_EN: 0
; COMPUTE_PGM_RSRC2:TIDIG_COMP_CNT: 0
; COMPUTE_PGM_RSRC3_GFX90A:ACCUM_OFFSET: 5
; COMPUTE_PGM_RSRC3_GFX90A:TG_SPLIT: 0
	.section	.text._ZN4vllm23rotary_embedding_kernelIN3c108BFloat16ELb1ELb0EEEvPKlPT_S6_PKS5_S8_illiii,"axG",@progbits,_ZN4vllm23rotary_embedding_kernelIN3c108BFloat16ELb1ELb0EEEvPKlPT_S6_PKS5_S8_illiii,comdat
	.protected	_ZN4vllm23rotary_embedding_kernelIN3c108BFloat16ELb1ELb0EEEvPKlPT_S6_PKS5_S8_illiii ; -- Begin function _ZN4vllm23rotary_embedding_kernelIN3c108BFloat16ELb1ELb0EEEvPKlPT_S6_PKS5_S8_illiii
	.globl	_ZN4vllm23rotary_embedding_kernelIN3c108BFloat16ELb1ELb0EEEvPKlPT_S6_PKS5_S8_illiii
	.p2align	8
	.type	_ZN4vllm23rotary_embedding_kernelIN3c108BFloat16ELb1ELb0EEEvPKlPT_S6_PKS5_S8_illiii,@function
_ZN4vllm23rotary_embedding_kernelIN3c108BFloat16ELb1ELb0EEEvPKlPT_S6_PKS5_S8_illiii: ; @_ZN4vllm23rotary_embedding_kernelIN3c108BFloat16ELb1ELb0EEEvPKlPT_S6_PKS5_S8_illiii
; %bb.0:
	s_load_dword s22, s[4:5], 0x28
	s_load_dwordx2 s[0:1], s[4:5], 0x0
	s_load_dwordx4 s[16:19], s[4:5], 0x10
	s_ashr_i32 s7, s6, 31
	s_lshl_b64 s[2:3], s[6:7], 3
	s_waitcnt lgkmcnt(0)
	s_ashr_i32 s23, s22, 31
	s_add_u32 s0, s0, s2
	s_addc_u32 s1, s1, s3
	s_load_dwordx2 s[2:3], s[0:1], 0x0
	s_load_dwordx2 s[20:21], s[4:5], 0x20
	s_load_dwordx8 s[8:15], s[4:5], 0x30
	s_waitcnt lgkmcnt(0)
	s_mul_i32 s0, s2, s23
	s_mul_hi_u32 s1, s2, s22
	s_add_i32 s0, s1, s0
	s_mul_i32 s1, s3, s22
	s_add_i32 s0, s0, s1
	s_mul_i32 s1, s2, s22
	s_lshr_b32 s2, s0, 31
	s_add_u32 s1, s1, s2
	s_addc_u32 s0, s0, 0
	s_and_b32 s1, s1, -2
	s_add_u32 s15, s18, s1
	s_addc_u32 s27, s19, s0
	s_add_u32 s26, s20, s1
	s_addc_u32 s28, s21, s0
	s_lshr_b32 s0, s22, 31
	s_add_i32 s22, s22, s0
	s_ashr_i32 s18, s22, 1
	s_mul_i32 s12, s18, s12
	v_cmp_gt_i32_e32 vcc, s12, v0
	s_and_saveexec_b64 s[20:21], vcc
	s_cbranch_execz .LBB10_3
; %bb.1:
	s_mul_i32 s0, s6, s9
	s_mul_hi_u32 s1, s6, s8
	s_add_i32 s2, s1, s0
	s_load_dwordx2 s[0:1], s[4:5], 0x8
	s_mul_i32 s3, s7, s8
	s_add_i32 s3, s2, s3
	s_mul_i32 s2, s6, s8
	s_load_dword s8, s[4:5], 0x5c
	s_lshl_b64 s[2:3], s[2:3], 1
	s_waitcnt lgkmcnt(0)
	s_add_u32 s29, s0, s2
	s_addc_u32 s0, s1, s3
	s_abs_i32 s30, s18
	v_cvt_f32_u32_e32 v1, s30
	s_sub_i32 s1, 0, s30
	s_ashr_i32 s19, s18, 31
	s_lshl_b64 s[24:25], s[18:19], 1
	v_rcp_iflag_f32_e32 v1, v1
	s_and_b32 s31, s8, 0xffff
	s_sub_i32 s33, 0, s18
	s_mov_b64 s[22:23], 0
	v_mul_f32_e32 v1, 0x4f7ffffe, v1
	v_cvt_u32_f32_e32 v1, v1
	v_mov_b32_e32 v3, s0
	v_mov_b32_e32 v8, s27
	;; [unrolled: 1-line block ×3, first 2 shown]
	v_mul_lo_u32 v2, s1, v1
	v_mul_hi_u32 v2, v1, v2
	v_add_u32_e32 v1, v1, v2
	v_mov_b32_e32 v10, s25
	s_movk_i32 s25, 0x7fff
	v_mov_b32_e32 v11, 0x7fc0
	s_mov_b32 s34, 0x5040100
	s_mov_b32 s35, 0x800ff
	;; [unrolled: 1-line block ×3, first 2 shown]
	v_mov_b32_e32 v2, v0
.LBB10_2:                               ; =>This Inner Loop Header: Depth=1
	v_sub_u32_e32 v5, 0, v2
	v_max_i32_e32 v5, v2, v5
	v_mul_hi_u32 v6, v5, v1
	v_mul_lo_u32 v7, v6, s30
	v_sub_u32_e32 v5, v5, v7
	v_add_u32_e32 v12, 1, v6
	v_cmp_le_u32_e32 vcc, s30, v5
	v_subrev_u32_e32 v7, s30, v5
	v_cndmask_b32_e32 v6, v6, v12, vcc
	v_cndmask_b32_e32 v5, v5, v7, vcc
	v_ashrrev_i32_e32 v4, 31, v2
	v_add_u32_e32 v7, 1, v6
	v_cmp_le_u32_e32 vcc, s30, v5
	v_xor_b32_e32 v4, s19, v4
	v_cndmask_b32_e32 v5, v6, v7, vcc
	v_xor_b32_e32 v5, v5, v4
	v_sub_u32_e32 v5, v5, v4
	v_mul_lo_u32 v4, v5, s14
	v_mad_u64_u32 v[6:7], s[0:1], s33, v5, v[2:3]
	v_ashrrev_i32_e32 v5, 31, v4
	v_lshlrev_b64 v[4:5], 1, v[4:5]
	v_ashrrev_i32_e32 v7, 31, v6
	v_add_co_u32_e32 v14, vcc, s29, v4
	v_lshlrev_b64 v[6:7], 1, v[6:7]
	v_addc_co_u32_e32 v15, vcc, v3, v5, vcc
	v_add_co_u32_e32 v4, vcc, s15, v6
	v_addc_co_u32_e32 v5, vcc, v8, v7, vcc
	v_add_co_u32_e32 v12, vcc, s26, v6
	v_addc_co_u32_e32 v13, vcc, v9, v7, vcc
	global_load_ushort v16, v[4:5], off
	global_load_ushort v17, v[12:13], off
	v_add_co_u32_e32 v4, vcc, v14, v6
	v_addc_co_u32_e32 v5, vcc, v15, v7, vcc
	v_add_co_u32_e32 v6, vcc, s24, v4
	v_addc_co_u32_e32 v7, vcc, v5, v10, vcc
	global_load_ushort v12, v[4:5], off
	global_load_ushort v13, v[6:7], off
	v_add_u32_e32 v2, s31, v2
	v_cmp_le_i32_e32 vcc, s12, v2
	s_or_b64 s[22:23], vcc, s[22:23]
	s_waitcnt vmcnt(3)
	v_lshrrev_b16_e32 v14, 8, v16
	v_and_b32_e32 v15, 0xff, v16
	s_waitcnt vmcnt(2)
	v_lshrrev_b16_e32 v16, 8, v17
	v_and_b32_e32 v17, 0xff, v17
	v_lshlrev_b32_e32 v17, 16, v17
	v_lshlrev_b32_e32 v15, 16, v15
	s_waitcnt vmcnt(1)
	v_lshrrev_b16_e32 v18, 8, v12
	v_and_b32_e32 v12, 0xff, v12
	s_waitcnt vmcnt(0)
	v_and_b32_e32 v20, 0xff, v13
	v_lshrrev_b16_e32 v19, 8, v13
	v_lshlrev_b32_e32 v21, 16, v12
	v_lshl_or_b32 v13, v14, 24, v15
	v_lshl_or_b32 v12, v16, 24, v17
	v_lshlrev_b32_e32 v15, 16, v20
	v_lshl_or_b32 v14, v18, 24, v21
	v_mov_b32_e32 v16, v13
	v_mov_b32_e32 v17, v12
	v_lshl_or_b32 v15, v19, 24, v15
	v_pk_mul_f32 v[16:17], v[16:17], v[14:15]
	v_pk_mul_f32 v[12:13], v[12:13], v[14:15]
	v_bfe_u32 v14, v16, 16, 1
	v_bfe_u32 v15, v17, 16, 1
	v_bfe_u32 v18, v12, 16, 1
	v_bfe_u32 v19, v13, 16, 1
	v_add3_u32 v15, v17, v15, s25
	v_add3_u32 v14, v16, v14, s25
	;; [unrolled: 1-line block ×4, first 2 shown]
	v_lshrrev_b32_e32 v14, 16, v14
	v_lshrrev_b32_e32 v15, 16, v15
	v_cmp_o_f32_e32 vcc, v17, v17
	v_cmp_o_f32_e64 s[8:9], v16, v16
	v_lshrrev_b32_e32 v17, 16, v18
	v_lshrrev_b32_e32 v18, 16, v19
	v_cmp_o_f32_e64 s[0:1], v12, v12
	v_cmp_o_f32_e64 s[2:3], v13, v13
	v_cndmask_b32_e64 v12, v11, v14, s[8:9]
	v_cndmask_b32_e32 v13, v11, v15, vcc
	v_cndmask_b32_e64 v14, v11, v17, s[0:1]
	v_cndmask_b32_e64 v15, v11, v18, s[2:3]
	v_perm_b32 v12, v13, v12, s34
	v_perm_b32 v13, v15, v14, s34
	v_and_b32_e32 v14, 0xff, v12
	v_pk_lshrrev_b16 v15, s35, v12
	v_pk_lshrrev_b16 v16, s36, v12
	v_and_b32_e32 v12, 0xff0000, v12
	v_and_b32_e32 v18, 0xff0000, v13
	;; [unrolled: 1-line block ×4, first 2 shown]
	v_lshlrev_b32_e32 v14, 16, v14
	v_pk_lshrrev_b16 v17, s36, v13
	v_pk_lshrrev_b16 v13, s35, v13
	v_lshlrev_b32_e32 v19, 16, v19
	v_and_b32_e32 v18, 0xffff0000, v18
	v_lshl_or_b32 v12, v15, 8, v12
	v_lshl_or_b32 v14, v16, 24, v14
	;; [unrolled: 1-line block ×4, first 2 shown]
	v_sub_f32_e32 v12, v14, v12
	v_add_f32_e32 v13, v13, v15
	v_bfe_u32 v14, v12, 16, 1
	v_bfe_u32 v15, v13, 16, 1
	v_add3_u32 v14, v12, v14, s25
	v_add3_u32 v15, v13, v15, s25
	v_lshrrev_b32_e32 v14, 16, v14
	v_cmp_o_f32_e64 s[0:1], v12, v12
	v_lshrrev_b32_e32 v15, 16, v15
	v_cmp_o_f32_e32 vcc, v13, v13
	v_cndmask_b32_e64 v12, v11, v14, s[0:1]
	v_cndmask_b32_e32 v13, v11, v15, vcc
	global_store_short v[4:5], v12, off
	global_store_short v[6:7], v13, off
	s_andn2_b64 exec, exec, s[22:23]
	s_cbranch_execnz .LBB10_2
.LBB10_3:
	s_or_b64 exec, exec, s[20:21]
	s_mul_i32 s12, s18, s13
	v_cmp_gt_i32_e32 vcc, s12, v0
	s_and_saveexec_b64 s[0:1], vcc
	s_cbranch_execz .LBB10_6
; %bb.4:
	s_mul_i32 s0, s6, s11
	s_mul_hi_u32 s1, s6, s10
	s_add_i32 s0, s1, s0
	s_mul_i32 s1, s7, s10
	s_add_i32 s1, s0, s1
	s_mul_i32 s0, s6, s10
	s_lshl_b64 s[0:1], s[0:1], 1
	s_add_u32 s10, s16, s0
	s_addc_u32 s0, s17, s1
	s_abs_i32 s11, s18
	v_cvt_f32_u32_e32 v1, s11
	s_load_dword s1, s[4:5], 0x5c
	s_ashr_i32 s19, s18, 31
	s_lshl_b64 s[8:9], s[18:19], 1
	v_rcp_iflag_f32_e32 v1, v1
	s_sub_i32 s16, 0, s18
	s_waitcnt lgkmcnt(0)
	s_and_b32 s13, s1, 0xffff
	s_sub_i32 s1, 0, s11
	v_mul_f32_e32 v1, 0x4f7ffffe, v1
	v_cvt_u32_f32_e32 v1, v1
	s_mov_b64 s[6:7], 0
	v_mov_b32_e32 v6, s0
	v_mov_b32_e32 v7, s27
	v_mul_lo_u32 v2, s1, v1
	v_mul_hi_u32 v2, v1, v2
	v_add_u32_e32 v1, v1, v2
	v_mov_b32_e32 v8, s28
	v_mov_b32_e32 v9, s9
	s_movk_i32 s9, 0x7fff
	v_mov_b32_e32 v10, 0x7fc0
	s_mov_b32 s17, 0x5040100
	s_mov_b32 s18, 0x800ff
	;; [unrolled: 1-line block ×3, first 2 shown]
.LBB10_5:                               ; =>This Inner Loop Header: Depth=1
	v_sub_u32_e32 v3, 0, v0
	v_max_i32_e32 v3, v0, v3
	v_mul_hi_u32 v4, v3, v1
	v_mul_lo_u32 v5, v4, s11
	v_sub_u32_e32 v3, v3, v5
	v_add_u32_e32 v11, 1, v4
	v_cmp_le_u32_e32 vcc, s11, v3
	v_subrev_u32_e32 v5, s11, v3
	v_cndmask_b32_e32 v4, v4, v11, vcc
	v_cndmask_b32_e32 v3, v3, v5, vcc
	v_ashrrev_i32_e32 v2, 31, v0
	v_add_u32_e32 v5, 1, v4
	v_cmp_le_u32_e32 vcc, s11, v3
	v_xor_b32_e32 v2, s19, v2
	v_cndmask_b32_e32 v3, v4, v5, vcc
	v_xor_b32_e32 v3, v3, v2
	v_sub_u32_e32 v3, v3, v2
	v_mul_lo_u32 v2, v3, s14
	v_mad_u64_u32 v[4:5], s[0:1], s16, v3, v[0:1]
	v_ashrrev_i32_e32 v3, 31, v2
	v_lshlrev_b64 v[2:3], 1, v[2:3]
	v_ashrrev_i32_e32 v5, 31, v4
	v_add_co_u32_e32 v11, vcc, s10, v2
	v_lshlrev_b64 v[4:5], 1, v[4:5]
	v_addc_co_u32_e32 v14, vcc, v6, v3, vcc
	v_add_co_u32_e32 v2, vcc, s15, v4
	v_addc_co_u32_e32 v3, vcc, v7, v5, vcc
	v_add_co_u32_e32 v12, vcc, s26, v4
	v_addc_co_u32_e32 v13, vcc, v8, v5, vcc
	global_load_ushort v15, v[2:3], off
	global_load_ushort v16, v[12:13], off
	v_add_co_u32_e32 v2, vcc, v11, v4
	v_addc_co_u32_e32 v3, vcc, v14, v5, vcc
	v_add_co_u32_e32 v4, vcc, s8, v2
	v_addc_co_u32_e32 v5, vcc, v3, v9, vcc
	global_load_ushort v11, v[2:3], off
	global_load_ushort v12, v[4:5], off
	v_add_u32_e32 v0, s13, v0
	v_cmp_le_i32_e32 vcc, s12, v0
	s_or_b64 s[6:7], vcc, s[6:7]
	s_waitcnt vmcnt(3)
	v_lshrrev_b16_e32 v13, 8, v15
	v_and_b32_e32 v14, 0xff, v15
	s_waitcnt vmcnt(2)
	v_lshrrev_b16_e32 v15, 8, v16
	v_and_b32_e32 v16, 0xff, v16
	v_lshlrev_b32_e32 v16, 16, v16
	v_lshlrev_b32_e32 v14, 16, v14
	v_lshl_or_b32 v13, v13, 24, v14
	s_waitcnt vmcnt(1)
	v_lshrrev_b16_e32 v17, 8, v11
	v_and_b32_e32 v11, 0xff, v11
	s_waitcnt vmcnt(0)
	v_and_b32_e32 v19, 0xff, v12
	v_lshrrev_b16_e32 v18, 8, v12
	v_lshlrev_b32_e32 v11, 16, v11
	v_lshl_or_b32 v12, v15, 24, v16
	v_lshlrev_b32_e32 v15, 16, v19
	v_lshl_or_b32 v14, v17, 24, v11
	v_mov_b32_e32 v16, v13
	v_mov_b32_e32 v17, v12
	v_lshl_or_b32 v15, v18, 24, v15
	v_pk_mul_f32 v[16:17], v[16:17], v[14:15]
	v_pk_mul_f32 v[12:13], v[12:13], v[14:15]
	v_bfe_u32 v11, v16, 16, 1
	v_bfe_u32 v14, v17, 16, 1
	;; [unrolled: 1-line block ×4, first 2 shown]
	v_add3_u32 v14, v17, v14, s9
	v_add3_u32 v11, v16, v11, s9
	v_add3_u32 v18, v13, v18, s9
	v_add3_u32 v15, v12, v15, s9
	v_lshrrev_b32_e32 v11, 16, v11
	v_lshrrev_b32_e32 v14, 16, v14
	v_cmp_o_f32_e32 vcc, v17, v17
	v_cmp_o_f32_e64 s[4:5], v16, v16
	v_lshrrev_b32_e32 v15, 16, v15
	v_lshrrev_b32_e32 v17, 16, v18
	v_cmp_o_f32_e64 s[0:1], v12, v12
	v_cmp_o_f32_e64 s[2:3], v13, v13
	v_cndmask_b32_e64 v11, v10, v11, s[4:5]
	v_cndmask_b32_e32 v12, v10, v14, vcc
	v_cndmask_b32_e64 v13, v10, v15, s[0:1]
	v_cndmask_b32_e64 v14, v10, v17, s[2:3]
	v_perm_b32 v11, v12, v11, s17
	v_perm_b32 v12, v14, v13, s17
	v_and_b32_e32 v13, 0xff, v11
	v_pk_lshrrev_b16 v14, s18, v11
	v_pk_lshrrev_b16 v15, s20, v11
	v_and_b32_e32 v11, 0xff0000, v11
	v_and_b32_e32 v17, 0xff0000, v12
	;; [unrolled: 1-line block ×4, first 2 shown]
	v_lshlrev_b32_e32 v13, 16, v13
	v_pk_lshrrev_b16 v16, s20, v12
	v_pk_lshrrev_b16 v12, s18, v12
	v_lshlrev_b32_e32 v18, 16, v18
	v_and_b32_e32 v17, 0xffff0000, v17
	v_lshl_or_b32 v11, v14, 8, v11
	v_lshl_or_b32 v13, v15, 24, v13
	v_lshl_or_b32 v14, v16, 24, v18
	v_lshl_or_b32 v12, v12, 8, v17
	v_sub_f32_e32 v11, v13, v11
	v_add_f32_e32 v12, v12, v14
	v_bfe_u32 v13, v11, 16, 1
	v_bfe_u32 v14, v12, 16, 1
	v_add3_u32 v13, v11, v13, s9
	v_add3_u32 v14, v12, v14, s9
	v_lshrrev_b32_e32 v13, 16, v13
	v_cmp_o_f32_e64 s[0:1], v11, v11
	v_lshrrev_b32_e32 v14, 16, v14
	v_cmp_o_f32_e32 vcc, v12, v12
	v_cndmask_b32_e64 v11, v10, v13, s[0:1]
	v_cndmask_b32_e32 v12, v10, v14, vcc
	global_store_short v[2:3], v11, off
	global_store_short v[4:5], v12, off
	s_andn2_b64 exec, exec, s[6:7]
	s_cbranch_execnz .LBB10_5
.LBB10_6:
	s_endpgm
	.section	.rodata,"a",@progbits
	.p2align	6, 0x0
	.amdhsa_kernel _ZN4vllm23rotary_embedding_kernelIN3c108BFloat16ELb1ELb0EEEvPKlPT_S6_PKS5_S8_illiii
		.amdhsa_group_segment_fixed_size 0
		.amdhsa_private_segment_fixed_size 0
		.amdhsa_kernarg_size 336
		.amdhsa_user_sgpr_count 6
		.amdhsa_user_sgpr_private_segment_buffer 1
		.amdhsa_user_sgpr_dispatch_ptr 0
		.amdhsa_user_sgpr_queue_ptr 0
		.amdhsa_user_sgpr_kernarg_segment_ptr 1
		.amdhsa_user_sgpr_dispatch_id 0
		.amdhsa_user_sgpr_flat_scratch_init 0
		.amdhsa_user_sgpr_kernarg_preload_length 0
		.amdhsa_user_sgpr_kernarg_preload_offset 0
		.amdhsa_user_sgpr_private_segment_size 0
		.amdhsa_uses_dynamic_stack 0
		.amdhsa_system_sgpr_private_segment_wavefront_offset 0
		.amdhsa_system_sgpr_workgroup_id_x 1
		.amdhsa_system_sgpr_workgroup_id_y 0
		.amdhsa_system_sgpr_workgroup_id_z 0
		.amdhsa_system_sgpr_workgroup_info 0
		.amdhsa_system_vgpr_workitem_id 0
		.amdhsa_next_free_vgpr 22
		.amdhsa_next_free_sgpr 37
		.amdhsa_accum_offset 24
		.amdhsa_reserve_vcc 1
		.amdhsa_reserve_flat_scratch 0
		.amdhsa_float_round_mode_32 0
		.amdhsa_float_round_mode_16_64 0
		.amdhsa_float_denorm_mode_32 3
		.amdhsa_float_denorm_mode_16_64 3
		.amdhsa_dx10_clamp 1
		.amdhsa_ieee_mode 1
		.amdhsa_fp16_overflow 0
		.amdhsa_tg_split 0
		.amdhsa_exception_fp_ieee_invalid_op 0
		.amdhsa_exception_fp_denorm_src 0
		.amdhsa_exception_fp_ieee_div_zero 0
		.amdhsa_exception_fp_ieee_overflow 0
		.amdhsa_exception_fp_ieee_underflow 0
		.amdhsa_exception_fp_ieee_inexact 0
		.amdhsa_exception_int_div_zero 0
	.end_amdhsa_kernel
	.section	.text._ZN4vllm23rotary_embedding_kernelIN3c108BFloat16ELb1ELb0EEEvPKlPT_S6_PKS5_S8_illiii,"axG",@progbits,_ZN4vllm23rotary_embedding_kernelIN3c108BFloat16ELb1ELb0EEEvPKlPT_S6_PKS5_S8_illiii,comdat
.Lfunc_end10:
	.size	_ZN4vllm23rotary_embedding_kernelIN3c108BFloat16ELb1ELb0EEEvPKlPT_S6_PKS5_S8_illiii, .Lfunc_end10-_ZN4vllm23rotary_embedding_kernelIN3c108BFloat16ELb1ELb0EEEvPKlPT_S6_PKS5_S8_illiii
                                        ; -- End function
	.section	.AMDGPU.csdata,"",@progbits
; Kernel info:
; codeLenInByte = 1948
; NumSgprs: 41
; NumVgprs: 22
; NumAgprs: 0
; TotalNumVgprs: 22
; ScratchSize: 0
; MemoryBound: 0
; FloatMode: 240
; IeeeMode: 1
; LDSByteSize: 0 bytes/workgroup (compile time only)
; SGPRBlocks: 5
; VGPRBlocks: 2
; NumSGPRsForWavesPerEU: 41
; NumVGPRsForWavesPerEU: 22
; AccumOffset: 24
; Occupancy: 8
; WaveLimiterHint : 1
; COMPUTE_PGM_RSRC2:SCRATCH_EN: 0
; COMPUTE_PGM_RSRC2:USER_SGPR: 6
; COMPUTE_PGM_RSRC2:TRAP_HANDLER: 0
; COMPUTE_PGM_RSRC2:TGID_X_EN: 1
; COMPUTE_PGM_RSRC2:TGID_Y_EN: 0
; COMPUTE_PGM_RSRC2:TGID_Z_EN: 0
; COMPUTE_PGM_RSRC2:TIDIG_COMP_CNT: 0
; COMPUTE_PGM_RSRC3_GFX90A:ACCUM_OFFSET: 5
; COMPUTE_PGM_RSRC3_GFX90A:TG_SPLIT: 0
	.section	.text._ZN4vllm23rotary_embedding_kernelIN3c108BFloat16ELb0ELb1EEEvPKlPT_S6_PKS5_S8_illiii,"axG",@progbits,_ZN4vllm23rotary_embedding_kernelIN3c108BFloat16ELb0ELb1EEEvPKlPT_S6_PKS5_S8_illiii,comdat
	.protected	_ZN4vllm23rotary_embedding_kernelIN3c108BFloat16ELb0ELb1EEEvPKlPT_S6_PKS5_S8_illiii ; -- Begin function _ZN4vllm23rotary_embedding_kernelIN3c108BFloat16ELb0ELb1EEEvPKlPT_S6_PKS5_S8_illiii
	.globl	_ZN4vllm23rotary_embedding_kernelIN3c108BFloat16ELb0ELb1EEEvPKlPT_S6_PKS5_S8_illiii
	.p2align	8
	.type	_ZN4vllm23rotary_embedding_kernelIN3c108BFloat16ELb0ELb1EEEvPKlPT_S6_PKS5_S8_illiii,@function
_ZN4vllm23rotary_embedding_kernelIN3c108BFloat16ELb0ELb1EEEvPKlPT_S6_PKS5_S8_illiii: ; @_ZN4vllm23rotary_embedding_kernelIN3c108BFloat16ELb0ELb1EEEvPKlPT_S6_PKS5_S8_illiii
; %bb.0:
	s_load_dword s24, s[4:5], 0x28
	s_load_dwordx2 s[0:1], s[4:5], 0x0
	s_load_dwordx4 s[16:19], s[4:5], 0x10
	s_ashr_i32 s7, s6, 31
	s_lshl_b64 s[2:3], s[6:7], 3
	s_waitcnt lgkmcnt(0)
	s_ashr_i32 s20, s24, 31
	s_add_u32 s0, s0, s2
	s_addc_u32 s1, s1, s3
	s_load_dwordx2 s[2:3], s[0:1], 0x0
	s_load_dwordx2 s[22:23], s[4:5], 0x20
	s_load_dwordx8 s[8:15], s[4:5], 0x30
	v_lshlrev_b32_e32 v2, 1, v0
	s_waitcnt lgkmcnt(0)
	s_mul_i32 s0, s2, s20
	s_mul_hi_u32 s1, s2, s24
	s_add_i32 s0, s1, s0
	s_mul_i32 s1, s3, s24
	s_add_i32 s0, s0, s1
	s_mul_i32 s1, s2, s24
	s_lshr_b32 s2, s0, 31
	s_add_u32 s1, s1, s2
	s_addc_u32 s0, s0, 0
	s_and_b32 s1, s1, -2
	s_add_u32 s15, s18, s1
	s_addc_u32 s21, s19, s0
	s_add_u32 s20, s22, s1
	s_addc_u32 s22, s23, s0
	s_lshr_b32 s0, s24, 31
	s_add_i32 s0, s24, s0
	s_ashr_i32 s23, s0, 1
	s_mul_i32 s12, s23, s12
	s_sub_i32 s2, s14, s24
	s_ashr_i32 s3, s2, 31
	v_cmp_gt_i32_e32 vcc, s12, v0
	s_and_saveexec_b64 s[18:19], vcc
	s_cbranch_execz .LBB11_3
; %bb.1:
	s_load_dwordx2 s[0:1], s[4:5], 0x8
	s_load_dword s27, s[4:5], 0x5c
	s_lshl_b64 s[24:25], s[2:3], 1
	s_mul_i32 s9, s6, s9
	s_mul_hi_u32 s26, s6, s8
	s_waitcnt lgkmcnt(0)
	s_add_u32 s24, s0, s24
	s_addc_u32 s25, s1, s25
	s_add_i32 s0, s26, s9
	s_mul_i32 s1, s7, s8
	s_add_i32 s1, s0, s1
	s_mul_i32 s0, s6, s8
	s_lshl_b64 s[0:1], s[0:1], 1
	s_add_u32 s24, s24, s0
	s_addc_u32 s0, s25, s1
	s_abs_i32 s25, s23
	v_cvt_f32_u32_e32 v1, s25
	s_sub_i32 s8, 0, s25
	s_and_b32 s26, s27, 0xffff
	s_lshl_b32 s1, s23, 1
	v_rcp_iflag_f32_e32 v1, v1
	s_ashr_i32 s27, s23, 31
	s_sub_i32 s28, 0, s1
	v_lshlrev_b32_e32 v4, 1, v0
	v_mul_f32_e32 v1, 0x4f7ffffe, v1
	v_cvt_u32_f32_e32 v1, v1
	s_lshl_b32 s29, s26, 1
	s_sub_i32 s30, 0, s23
	v_mov_b32_e32 v5, s21
	v_mul_lo_u32 v3, s8, v1
	v_mul_hi_u32 v3, v1, v3
	v_add_u32_e32 v1, v1, v3
	s_mov_b64 s[8:9], 0
	v_mov_b32_e32 v3, s0
	v_mov_b32_e32 v7, s22
	s_movk_i32 s31, 0xff
	s_mov_b32 s33, 0xff000000
	s_movk_i32 s34, 0x7fff
	v_mov_b32_e32 v10, 0x7fc0
	s_mov_b32 s35, 0x5040100
	s_mov_b32 s36, 0x800ff
	;; [unrolled: 1-line block ×3, first 2 shown]
	v_mov_b32_e32 v6, v0
.LBB11_2:                               ; =>This Inner Loop Header: Depth=1
	v_sub_u32_e32 v9, 0, v6
	v_max_i32_e32 v9, v6, v9
	v_mul_hi_u32 v11, v9, v1
	v_mul_lo_u32 v12, v11, s25
	v_sub_u32_e32 v9, v9, v12
	v_add_u32_e32 v13, 1, v11
	v_cmp_le_u32_e32 vcc, s25, v9
	v_subrev_u32_e32 v12, s25, v9
	v_cndmask_b32_e32 v11, v11, v13, vcc
	v_cndmask_b32_e32 v9, v9, v12, vcc
	v_ashrrev_i32_e32 v8, 31, v6
	v_add_u32_e32 v12, 1, v11
	v_cmp_le_u32_e32 vcc, s25, v9
	v_xor_b32_e32 v8, s27, v8
	v_cndmask_b32_e32 v9, v11, v12, vcc
	v_xor_b32_e32 v9, v9, v8
	v_sub_u32_e32 v9, v9, v8
	v_mul_lo_u32 v8, v9, s14
	v_mad_u64_u32 v[12:13], s[0:1], s30, v9, v[6:7]
	v_mad_u64_u32 v[14:15], s[0:1], s28, v9, v[4:5]
	v_ashrrev_i32_e32 v9, 31, v8
	v_lshlrev_b64 v[8:9], 1, v[8:9]
	v_ashrrev_i32_e32 v13, 31, v12
	v_add_co_u32_e32 v11, vcc, s24, v8
	v_lshlrev_b64 v[12:13], 1, v[12:13]
	v_addc_co_u32_e32 v16, vcc, v3, v9, vcc
	v_add_co_u32_e32 v8, vcc, s15, v12
	v_addc_co_u32_e32 v9, vcc, v5, v13, vcc
	v_ashrrev_i32_e32 v15, 31, v14
	v_add_co_u32_e32 v12, vcc, s20, v12
	v_lshlrev_b64 v[14:15], 1, v[14:15]
	v_addc_co_u32_e32 v13, vcc, v7, v13, vcc
	global_load_ushort v17, v[8:9], off
	global_load_ushort v18, v[12:13], off
	v_add_co_u32_e32 v8, vcc, v11, v14
	v_addc_co_u32_e32 v9, vcc, v16, v15, vcc
	global_load_dword v11, v[8:9], off
	v_add_u32_e32 v6, s26, v6
	v_cmp_le_i32_e32 vcc, s12, v6
	s_or_b64 s[8:9], vcc, s[8:9]
	v_add_u32_e32 v4, s29, v4
	s_waitcnt vmcnt(2)
	v_and_b32_e32 v13, 0xff, v17
	s_waitcnt vmcnt(1)
	v_and_b32_e32 v15, 0xff, v18
	v_lshrrev_b16_e32 v12, 8, v17
	v_lshrrev_b16_e32 v14, 8, v18
	v_lshlrev_b32_e32 v13, 16, v13
	v_lshlrev_b32_e32 v15, 16, v15
	s_waitcnt vmcnt(0)
	v_and_b32_e32 v17, 0xff, v11
	v_and_b32_sdwa v18, v11, s31 dst_sel:DWORD dst_unused:UNUSED_PAD src0_sel:WORD_1 src1_sel:DWORD
	v_lshrrev_b16_e32 v16, 8, v11
	v_lshlrev_b32_e32 v17, 16, v17
	v_lshl_or_b32 v12, v12, 24, v13
	v_lshlrev_b32_e32 v13, 16, v18
	v_lshl_or_b32 v15, v14, 24, v15
	v_lshl_or_b32 v14, v16, 24, v17
	v_and_or_b32 v16, v11, s33, v13
	v_mov_b32_e32 v18, v15
	v_mov_b32_e32 v19, v12
	;; [unrolled: 1-line block ×3, first 2 shown]
	v_pk_mul_f32 v[16:17], v[18:19], v[16:17] op_sel_hi:[1,0]
	v_pk_mul_f32 v[12:13], v[12:13], v[14:15]
	v_bfe_u32 v11, v16, 16, 1
	v_bfe_u32 v14, v17, 16, 1
	v_add3_u32 v14, v17, v14, s34
	v_add3_u32 v11, v16, v11, s34
	v_bfe_u32 v15, v12, 16, 1
	v_bfe_u32 v18, v13, 16, 1
	v_lshrrev_b32_e32 v11, 16, v11
	v_lshrrev_b32_e32 v14, 16, v14
	v_cmp_o_f32_e32 vcc, v17, v17
	v_add3_u32 v17, v13, v18, s34
	v_add3_u32 v15, v12, v15, s34
	v_cmp_o_f32_e64 s[0:1], v16, v16
	v_cndmask_b32_e64 v11, v10, v11, s[0:1]
	v_cndmask_b32_e32 v14, v10, v14, vcc
	v_lshrrev_b32_e32 v15, 16, v15
	v_lshrrev_b32_e32 v16, 16, v17
	v_cmp_o_f32_e32 vcc, v13, v13
	v_cmp_o_f32_e64 s[0:1], v12, v12
	v_perm_b32 v11, v14, v11, s35
	v_cndmask_b32_e64 v12, v10, v15, s[0:1]
	v_cndmask_b32_e32 v13, v10, v16, vcc
	v_perm_b32 v12, v13, v12, s35
	v_and_b32_e32 v13, 0xff, v11
	v_pk_lshrrev_b16 v14, s36, v11
	v_pk_lshrrev_b16 v15, s37, v11
	v_and_b32_e32 v11, 0xff0000, v11
	v_and_b32_e32 v11, 0xffff0000, v11
	;; [unrolled: 1-line block ×4, first 2 shown]
	v_lshlrev_b32_e32 v16, 16, v13
	v_pk_lshrrev_b16 v18, s36, v12
	v_pk_lshrrev_b16 v19, s37, v12
	v_lshl_or_b32 v13, v14, 8, v11
	v_and_b32_e32 v11, 0xffff0000, v20
	v_lshlrev_b32_e32 v14, 16, v17
	v_lshl_or_b32 v12, v15, 24, v16
	v_lshl_or_b32 v15, v18, 8, v11
	;; [unrolled: 1-line block ×3, first 2 shown]
	v_pk_add_f32 v[16:17], v[14:15], v[12:13] neg_lo:[0,1] neg_hi:[0,1]
	v_pk_add_f32 v[12:13], v[14:15], v[12:13]
	v_bfe_u32 v11, v16, 16, 1
	v_bfe_u32 v12, v13, 16, 1
	v_add3_u32 v12, v13, v12, s34
	v_add3_u32 v11, v16, v11, s34
	v_lshrrev_b32_e32 v11, 16, v11
	v_lshrrev_b32_e32 v12, 16, v12
	v_cmp_o_f32_e32 vcc, v13, v13
	v_cmp_o_f32_e64 s[0:1], v16, v16
	v_cndmask_b32_e64 v11, v10, v11, s[0:1]
	v_cndmask_b32_e32 v12, v10, v12, vcc
	v_perm_b32 v11, v12, v11, s35
	global_store_dword v[8:9], v11, off
	s_andn2_b64 exec, exec, s[8:9]
	s_cbranch_execnz .LBB11_2
.LBB11_3:
	s_or_b64 exec, exec, s[18:19]
	s_mul_i32 s8, s23, s13
	v_cmp_gt_i32_e32 vcc, s8, v0
	s_and_saveexec_b64 s[0:1], vcc
	s_cbranch_execz .LBB11_6
; %bb.4:
	s_lshl_b64 s[0:1], s[2:3], 1
	s_add_u32 s2, s16, s0
	s_addc_u32 s3, s17, s1
	s_mul_i32 s0, s6, s11
	s_mul_hi_u32 s1, s6, s10
	s_add_i32 s0, s1, s0
	s_mul_i32 s1, s7, s10
	s_add_i32 s1, s0, s1
	s_mul_i32 s0, s6, s10
	s_lshl_b64 s[0:1], s[0:1], 1
	s_add_u32 s6, s2, s0
	s_addc_u32 s0, s3, s1
	s_abs_i32 s7, s23
	v_cvt_f32_u32_e32 v1, s7
	s_load_dword s1, s[4:5], 0x5c
	s_ashr_i32 s5, s23, 31
	s_sub_i32 s11, 0, s23
	v_rcp_iflag_f32_e32 v1, v1
	s_mov_b64 s[2:3], 0
	s_waitcnt lgkmcnt(0)
	s_and_b32 s4, s1, 0xffff
	s_sub_i32 s1, 0, s7
	v_mul_f32_e32 v1, 0x4f7ffffe, v1
	v_cvt_u32_f32_e32 v1, v1
	s_lshl_b32 s10, s4, 1
	v_mov_b32_e32 v6, s21
	v_mov_b32_e32 v7, s22
	v_mul_lo_u32 v3, s1, v1
	v_mul_hi_u32 v3, v1, v3
	s_lshl_b32 s1, s23, 1
	v_add_u32_e32 v1, v1, v3
	s_sub_i32 s9, 0, s1
	v_mov_b32_e32 v3, s0
	s_movk_i32 s12, 0xff
	s_mov_b32 s13, 0xff000000
	s_movk_i32 s16, 0x7fff
	v_mov_b32_e32 v8, 0x7fc0
	s_mov_b32 s17, 0x5040100
	s_mov_b32 s18, 0x800ff
	;; [unrolled: 1-line block ×3, first 2 shown]
.LBB11_5:                               ; =>This Inner Loop Header: Depth=1
	v_sub_u32_e32 v5, 0, v0
	v_max_i32_e32 v5, v0, v5
	v_mul_hi_u32 v9, v5, v1
	v_mul_lo_u32 v10, v9, s7
	v_sub_u32_e32 v5, v5, v10
	v_add_u32_e32 v11, 1, v9
	v_cmp_le_u32_e32 vcc, s7, v5
	v_subrev_u32_e32 v10, s7, v5
	v_cndmask_b32_e32 v9, v9, v11, vcc
	v_cndmask_b32_e32 v5, v5, v10, vcc
	v_ashrrev_i32_e32 v4, 31, v0
	v_add_u32_e32 v10, 1, v9
	v_cmp_le_u32_e32 vcc, s7, v5
	v_xor_b32_e32 v4, s5, v4
	v_cndmask_b32_e32 v5, v9, v10, vcc
	v_xor_b32_e32 v5, v5, v4
	v_sub_u32_e32 v5, v5, v4
	v_mul_lo_u32 v4, v5, s14
	v_mad_u64_u32 v[10:11], s[0:1], s11, v5, v[0:1]
	v_mad_u64_u32 v[12:13], s[0:1], s9, v5, v[2:3]
	v_ashrrev_i32_e32 v5, 31, v4
	v_lshlrev_b64 v[4:5], 1, v[4:5]
	v_ashrrev_i32_e32 v11, 31, v10
	v_add_co_u32_e32 v9, vcc, s6, v4
	v_lshlrev_b64 v[10:11], 1, v[10:11]
	v_addc_co_u32_e32 v14, vcc, v3, v5, vcc
	v_add_co_u32_e32 v4, vcc, s15, v10
	v_addc_co_u32_e32 v5, vcc, v6, v11, vcc
	v_ashrrev_i32_e32 v13, 31, v12
	v_add_co_u32_e32 v10, vcc, s20, v10
	v_lshlrev_b64 v[12:13], 1, v[12:13]
	v_addc_co_u32_e32 v11, vcc, v7, v11, vcc
	global_load_ushort v15, v[4:5], off
	global_load_ushort v16, v[10:11], off
	v_add_co_u32_e32 v4, vcc, v9, v12
	v_addc_co_u32_e32 v5, vcc, v14, v13, vcc
	global_load_dword v9, v[4:5], off
	v_add_u32_e32 v0, s4, v0
	v_cmp_le_i32_e32 vcc, s8, v0
	s_or_b64 s[2:3], vcc, s[2:3]
	v_add_u32_e32 v2, s10, v2
	s_waitcnt vmcnt(2)
	v_and_b32_e32 v11, 0xff, v15
	s_waitcnt vmcnt(1)
	v_and_b32_e32 v13, 0xff, v16
	v_lshrrev_b16_e32 v10, 8, v15
	v_lshrrev_b16_e32 v12, 8, v16
	v_lshlrev_b32_e32 v11, 16, v11
	v_lshlrev_b32_e32 v13, 16, v13
	s_waitcnt vmcnt(0)
	v_and_b32_e32 v15, 0xff, v9
	v_and_b32_sdwa v16, v9, s12 dst_sel:DWORD dst_unused:UNUSED_PAD src0_sel:WORD_1 src1_sel:DWORD
	v_lshrrev_b16_e32 v14, 8, v9
	v_lshlrev_b32_e32 v15, 16, v15
	v_lshl_or_b32 v10, v10, 24, v11
	v_lshlrev_b32_e32 v11, 16, v16
	v_lshl_or_b32 v13, v12, 24, v13
	v_lshl_or_b32 v12, v14, 24, v15
	v_and_or_b32 v14, v9, s13, v11
	v_mov_b32_e32 v16, v13
	v_mov_b32_e32 v17, v10
	v_mov_b32_e32 v11, v12
	v_pk_mul_f32 v[14:15], v[16:17], v[14:15] op_sel_hi:[1,0]
	v_pk_mul_f32 v[10:11], v[10:11], v[12:13]
	v_bfe_u32 v9, v14, 16, 1
	v_bfe_u32 v12, v15, 16, 1
	v_add3_u32 v12, v15, v12, s16
	v_add3_u32 v9, v14, v9, s16
	v_bfe_u32 v13, v10, 16, 1
	v_bfe_u32 v16, v11, 16, 1
	v_lshrrev_b32_e32 v9, 16, v9
	v_lshrrev_b32_e32 v12, 16, v12
	v_cmp_o_f32_e32 vcc, v15, v15
	v_add3_u32 v15, v11, v16, s16
	v_add3_u32 v13, v10, v13, s16
	v_cmp_o_f32_e64 s[0:1], v14, v14
	v_cndmask_b32_e64 v9, v8, v9, s[0:1]
	v_cndmask_b32_e32 v12, v8, v12, vcc
	v_lshrrev_b32_e32 v13, 16, v13
	v_lshrrev_b32_e32 v14, 16, v15
	v_cmp_o_f32_e32 vcc, v11, v11
	v_cmp_o_f32_e64 s[0:1], v10, v10
	v_perm_b32 v9, v12, v9, s17
	v_cndmask_b32_e64 v10, v8, v13, s[0:1]
	v_cndmask_b32_e32 v11, v8, v14, vcc
	v_perm_b32 v10, v11, v10, s17
	v_and_b32_e32 v11, 0xff, v9
	v_pk_lshrrev_b16 v12, s18, v9
	v_pk_lshrrev_b16 v13, s19, v9
	v_and_b32_e32 v9, 0xff0000, v9
	v_and_b32_e32 v9, 0xffff0000, v9
	v_and_b32_e32 v15, 0xff, v10
	v_and_b32_e32 v18, 0xff0000, v10
	v_lshlrev_b32_e32 v14, 16, v11
	v_pk_lshrrev_b16 v16, s18, v10
	v_pk_lshrrev_b16 v17, s19, v10
	v_lshl_or_b32 v11, v12, 8, v9
	v_and_b32_e32 v9, 0xffff0000, v18
	v_lshlrev_b32_e32 v12, 16, v15
	v_lshl_or_b32 v10, v13, 24, v14
	v_lshl_or_b32 v13, v16, 8, v9
	;; [unrolled: 1-line block ×3, first 2 shown]
	v_pk_add_f32 v[14:15], v[12:13], v[10:11] neg_lo:[0,1] neg_hi:[0,1]
	v_pk_add_f32 v[10:11], v[12:13], v[10:11]
	v_bfe_u32 v9, v14, 16, 1
	v_bfe_u32 v10, v11, 16, 1
	v_add3_u32 v10, v11, v10, s16
	v_add3_u32 v9, v14, v9, s16
	v_lshrrev_b32_e32 v9, 16, v9
	v_lshrrev_b32_e32 v10, 16, v10
	v_cmp_o_f32_e32 vcc, v11, v11
	v_cmp_o_f32_e64 s[0:1], v14, v14
	v_cndmask_b32_e64 v9, v8, v9, s[0:1]
	v_cndmask_b32_e32 v10, v8, v10, vcc
	v_perm_b32 v9, v10, v9, s17
	global_store_dword v[4:5], v9, off
	s_andn2_b64 exec, exec, s[2:3]
	s_cbranch_execnz .LBB11_5
.LBB11_6:
	s_endpgm
	.section	.rodata,"a",@progbits
	.p2align	6, 0x0
	.amdhsa_kernel _ZN4vllm23rotary_embedding_kernelIN3c108BFloat16ELb0ELb1EEEvPKlPT_S6_PKS5_S8_illiii
		.amdhsa_group_segment_fixed_size 0
		.amdhsa_private_segment_fixed_size 0
		.amdhsa_kernarg_size 336
		.amdhsa_user_sgpr_count 6
		.amdhsa_user_sgpr_private_segment_buffer 1
		.amdhsa_user_sgpr_dispatch_ptr 0
		.amdhsa_user_sgpr_queue_ptr 0
		.amdhsa_user_sgpr_kernarg_segment_ptr 1
		.amdhsa_user_sgpr_dispatch_id 0
		.amdhsa_user_sgpr_flat_scratch_init 0
		.amdhsa_user_sgpr_kernarg_preload_length 0
		.amdhsa_user_sgpr_kernarg_preload_offset 0
		.amdhsa_user_sgpr_private_segment_size 0
		.amdhsa_uses_dynamic_stack 0
		.amdhsa_system_sgpr_private_segment_wavefront_offset 0
		.amdhsa_system_sgpr_workgroup_id_x 1
		.amdhsa_system_sgpr_workgroup_id_y 0
		.amdhsa_system_sgpr_workgroup_id_z 0
		.amdhsa_system_sgpr_workgroup_info 0
		.amdhsa_system_vgpr_workitem_id 0
		.amdhsa_next_free_vgpr 21
		.amdhsa_next_free_sgpr 38
		.amdhsa_accum_offset 24
		.amdhsa_reserve_vcc 1
		.amdhsa_reserve_flat_scratch 0
		.amdhsa_float_round_mode_32 0
		.amdhsa_float_round_mode_16_64 0
		.amdhsa_float_denorm_mode_32 3
		.amdhsa_float_denorm_mode_16_64 3
		.amdhsa_dx10_clamp 1
		.amdhsa_ieee_mode 1
		.amdhsa_fp16_overflow 0
		.amdhsa_tg_split 0
		.amdhsa_exception_fp_ieee_invalid_op 0
		.amdhsa_exception_fp_denorm_src 0
		.amdhsa_exception_fp_ieee_div_zero 0
		.amdhsa_exception_fp_ieee_overflow 0
		.amdhsa_exception_fp_ieee_underflow 0
		.amdhsa_exception_fp_ieee_inexact 0
		.amdhsa_exception_int_div_zero 0
	.end_amdhsa_kernel
	.section	.text._ZN4vllm23rotary_embedding_kernelIN3c108BFloat16ELb0ELb1EEEvPKlPT_S6_PKS5_S8_illiii,"axG",@progbits,_ZN4vllm23rotary_embedding_kernelIN3c108BFloat16ELb0ELb1EEEvPKlPT_S6_PKS5_S8_illiii,comdat
.Lfunc_end11:
	.size	_ZN4vllm23rotary_embedding_kernelIN3c108BFloat16ELb0ELb1EEEvPKlPT_S6_PKS5_S8_illiii, .Lfunc_end11-_ZN4vllm23rotary_embedding_kernelIN3c108BFloat16ELb0ELb1EEEvPKlPT_S6_PKS5_S8_illiii
                                        ; -- End function
	.section	.AMDGPU.csdata,"",@progbits
; Kernel info:
; codeLenInByte = 2028
; NumSgprs: 42
; NumVgprs: 21
; NumAgprs: 0
; TotalNumVgprs: 21
; ScratchSize: 0
; MemoryBound: 0
; FloatMode: 240
; IeeeMode: 1
; LDSByteSize: 0 bytes/workgroup (compile time only)
; SGPRBlocks: 5
; VGPRBlocks: 2
; NumSGPRsForWavesPerEU: 42
; NumVGPRsForWavesPerEU: 21
; AccumOffset: 24
; Occupancy: 8
; WaveLimiterHint : 1
; COMPUTE_PGM_RSRC2:SCRATCH_EN: 0
; COMPUTE_PGM_RSRC2:USER_SGPR: 6
; COMPUTE_PGM_RSRC2:TRAP_HANDLER: 0
; COMPUTE_PGM_RSRC2:TGID_X_EN: 1
; COMPUTE_PGM_RSRC2:TGID_Y_EN: 0
; COMPUTE_PGM_RSRC2:TGID_Z_EN: 0
; COMPUTE_PGM_RSRC2:TIDIG_COMP_CNT: 0
; COMPUTE_PGM_RSRC3_GFX90A:ACCUM_OFFSET: 5
; COMPUTE_PGM_RSRC3_GFX90A:TG_SPLIT: 0
	.section	.text._ZN4vllm23rotary_embedding_kernelIN3c108BFloat16ELb0ELb0EEEvPKlPT_S6_PKS5_S8_illiii,"axG",@progbits,_ZN4vllm23rotary_embedding_kernelIN3c108BFloat16ELb0ELb0EEEvPKlPT_S6_PKS5_S8_illiii,comdat
	.protected	_ZN4vllm23rotary_embedding_kernelIN3c108BFloat16ELb0ELb0EEEvPKlPT_S6_PKS5_S8_illiii ; -- Begin function _ZN4vllm23rotary_embedding_kernelIN3c108BFloat16ELb0ELb0EEEvPKlPT_S6_PKS5_S8_illiii
	.globl	_ZN4vllm23rotary_embedding_kernelIN3c108BFloat16ELb0ELb0EEEvPKlPT_S6_PKS5_S8_illiii
	.p2align	8
	.type	_ZN4vllm23rotary_embedding_kernelIN3c108BFloat16ELb0ELb0EEEvPKlPT_S6_PKS5_S8_illiii,@function
_ZN4vllm23rotary_embedding_kernelIN3c108BFloat16ELb0ELb0EEEvPKlPT_S6_PKS5_S8_illiii: ; @_ZN4vllm23rotary_embedding_kernelIN3c108BFloat16ELb0ELb0EEEvPKlPT_S6_PKS5_S8_illiii
; %bb.0:
	s_load_dword s22, s[4:5], 0x28
	s_load_dwordx2 s[0:1], s[4:5], 0x0
	s_load_dwordx4 s[16:19], s[4:5], 0x10
	s_ashr_i32 s7, s6, 31
	s_lshl_b64 s[2:3], s[6:7], 3
	s_waitcnt lgkmcnt(0)
	s_ashr_i32 s23, s22, 31
	s_add_u32 s0, s0, s2
	s_addc_u32 s1, s1, s3
	s_load_dwordx2 s[2:3], s[0:1], 0x0
	s_load_dwordx2 s[20:21], s[4:5], 0x20
	s_load_dwordx8 s[8:15], s[4:5], 0x30
	v_lshlrev_b32_e32 v2, 1, v0
	s_waitcnt lgkmcnt(0)
	s_mul_i32 s0, s2, s23
	s_mul_hi_u32 s1, s2, s22
	s_add_i32 s0, s1, s0
	s_mul_i32 s1, s3, s22
	s_add_i32 s0, s0, s1
	s_mul_i32 s1, s2, s22
	s_lshr_b32 s2, s0, 31
	s_add_u32 s1, s1, s2
	s_addc_u32 s0, s0, 0
	s_and_b32 s1, s1, -2
	s_add_u32 s15, s18, s1
	s_addc_u32 s19, s19, s0
	s_add_u32 s18, s20, s1
	s_addc_u32 s20, s21, s0
	s_lshr_b32 s0, s22, 31
	s_add_i32 s22, s22, s0
	s_ashr_i32 s21, s22, 1
	s_mul_i32 s12, s21, s12
	v_cmp_gt_i32_e32 vcc, s12, v0
	s_and_saveexec_b64 s[2:3], vcc
	s_cbranch_execz .LBB12_3
; %bb.1:
	s_mul_i32 s0, s6, s9
	s_mul_hi_u32 s1, s6, s8
	s_add_i32 s9, s1, s0
	s_load_dwordx2 s[0:1], s[4:5], 0x8
	s_load_dword s24, s[4:5], 0x5c
	s_mul_i32 s22, s7, s8
	s_add_i32 s9, s9, s22
	s_mul_i32 s8, s6, s8
	s_lshl_b64 s[8:9], s[8:9], 1
	s_waitcnt lgkmcnt(0)
	s_add_u32 s22, s0, s8
	s_addc_u32 s0, s1, s9
	s_abs_i32 s23, s21
	v_cvt_f32_u32_e32 v1, s23
	s_sub_i32 s8, 0, s23
	s_and_b32 s24, s24, 0xffff
	s_lshl_b32 s1, s21, 1
	v_rcp_iflag_f32_e32 v1, v1
	s_ashr_i32 s25, s21, 31
	s_sub_i32 s26, 0, s1
	v_lshlrev_b32_e32 v4, 1, v0
	v_mul_f32_e32 v1, 0x4f7ffffe, v1
	v_cvt_u32_f32_e32 v1, v1
	s_lshl_b32 s27, s24, 1
	s_sub_i32 s28, 0, s21
	v_mov_b32_e32 v5, s19
	v_mul_lo_u32 v3, s8, v1
	v_mul_hi_u32 v3, v1, v3
	v_add_u32_e32 v1, v1, v3
	s_mov_b64 s[8:9], 0
	v_mov_b32_e32 v3, s0
	v_mov_b32_e32 v7, s20
	s_movk_i32 s29, 0xff
	s_mov_b32 s30, 0xff000000
	s_movk_i32 s31, 0x7fff
	v_mov_b32_e32 v10, 0x7fc0
	s_mov_b32 s33, 0x5040100
	s_mov_b32 s34, 0x800ff
	;; [unrolled: 1-line block ×3, first 2 shown]
	v_mov_b32_e32 v6, v0
.LBB12_2:                               ; =>This Inner Loop Header: Depth=1
	v_sub_u32_e32 v9, 0, v6
	v_max_i32_e32 v9, v6, v9
	v_mul_hi_u32 v11, v9, v1
	v_mul_lo_u32 v12, v11, s23
	v_sub_u32_e32 v9, v9, v12
	v_add_u32_e32 v13, 1, v11
	v_cmp_le_u32_e32 vcc, s23, v9
	v_subrev_u32_e32 v12, s23, v9
	v_cndmask_b32_e32 v11, v11, v13, vcc
	v_cndmask_b32_e32 v9, v9, v12, vcc
	v_ashrrev_i32_e32 v8, 31, v6
	v_add_u32_e32 v12, 1, v11
	v_cmp_le_u32_e32 vcc, s23, v9
	v_xor_b32_e32 v8, s25, v8
	v_cndmask_b32_e32 v9, v11, v12, vcc
	v_xor_b32_e32 v9, v9, v8
	v_sub_u32_e32 v9, v9, v8
	v_mul_lo_u32 v8, v9, s14
	v_mad_u64_u32 v[12:13], s[0:1], s28, v9, v[6:7]
	v_mad_u64_u32 v[14:15], s[0:1], s26, v9, v[4:5]
	v_ashrrev_i32_e32 v9, 31, v8
	v_lshlrev_b64 v[8:9], 1, v[8:9]
	v_ashrrev_i32_e32 v13, 31, v12
	v_add_co_u32_e32 v11, vcc, s22, v8
	v_lshlrev_b64 v[12:13], 1, v[12:13]
	v_addc_co_u32_e32 v16, vcc, v3, v9, vcc
	v_add_co_u32_e32 v8, vcc, s15, v12
	v_addc_co_u32_e32 v9, vcc, v5, v13, vcc
	v_ashrrev_i32_e32 v15, 31, v14
	v_add_co_u32_e32 v12, vcc, s18, v12
	v_lshlrev_b64 v[14:15], 1, v[14:15]
	v_addc_co_u32_e32 v13, vcc, v7, v13, vcc
	global_load_ushort v17, v[8:9], off
	global_load_ushort v18, v[12:13], off
	v_add_co_u32_e32 v8, vcc, v11, v14
	v_addc_co_u32_e32 v9, vcc, v16, v15, vcc
	global_load_dword v11, v[8:9], off
	v_add_u32_e32 v6, s24, v6
	v_cmp_le_i32_e32 vcc, s12, v6
	s_or_b64 s[8:9], vcc, s[8:9]
	v_add_u32_e32 v4, s27, v4
	s_waitcnt vmcnt(2)
	v_and_b32_e32 v13, 0xff, v17
	s_waitcnt vmcnt(1)
	v_and_b32_e32 v15, 0xff, v18
	v_lshrrev_b16_e32 v12, 8, v17
	v_lshrrev_b16_e32 v14, 8, v18
	v_lshlrev_b32_e32 v13, 16, v13
	v_lshlrev_b32_e32 v15, 16, v15
	s_waitcnt vmcnt(0)
	v_and_b32_e32 v17, 0xff, v11
	v_and_b32_sdwa v18, v11, s29 dst_sel:DWORD dst_unused:UNUSED_PAD src0_sel:WORD_1 src1_sel:DWORD
	v_lshrrev_b16_e32 v16, 8, v11
	v_lshlrev_b32_e32 v17, 16, v17
	v_lshl_or_b32 v12, v12, 24, v13
	v_lshlrev_b32_e32 v13, 16, v18
	v_lshl_or_b32 v15, v14, 24, v15
	v_lshl_or_b32 v14, v16, 24, v17
	v_and_or_b32 v16, v11, s30, v13
	v_mov_b32_e32 v18, v15
	v_mov_b32_e32 v19, v12
	;; [unrolled: 1-line block ×3, first 2 shown]
	v_pk_mul_f32 v[16:17], v[18:19], v[16:17] op_sel_hi:[1,0]
	v_pk_mul_f32 v[12:13], v[12:13], v[14:15]
	v_bfe_u32 v11, v16, 16, 1
	v_bfe_u32 v14, v17, 16, 1
	v_add3_u32 v14, v17, v14, s31
	v_add3_u32 v11, v16, v11, s31
	v_bfe_u32 v15, v12, 16, 1
	v_bfe_u32 v18, v13, 16, 1
	v_lshrrev_b32_e32 v11, 16, v11
	v_lshrrev_b32_e32 v14, 16, v14
	v_cmp_o_f32_e32 vcc, v17, v17
	v_add3_u32 v17, v13, v18, s31
	v_add3_u32 v15, v12, v15, s31
	v_cmp_o_f32_e64 s[0:1], v16, v16
	v_cndmask_b32_e64 v11, v10, v11, s[0:1]
	v_cndmask_b32_e32 v14, v10, v14, vcc
	v_lshrrev_b32_e32 v15, 16, v15
	v_lshrrev_b32_e32 v16, 16, v17
	v_cmp_o_f32_e32 vcc, v13, v13
	v_cmp_o_f32_e64 s[0:1], v12, v12
	v_perm_b32 v11, v14, v11, s33
	v_cndmask_b32_e64 v12, v10, v15, s[0:1]
	v_cndmask_b32_e32 v13, v10, v16, vcc
	v_perm_b32 v12, v13, v12, s33
	v_and_b32_e32 v13, 0xff, v11
	v_pk_lshrrev_b16 v14, s34, v11
	v_pk_lshrrev_b16 v15, s35, v11
	v_and_b32_e32 v11, 0xff0000, v11
	v_and_b32_e32 v11, 0xffff0000, v11
	;; [unrolled: 1-line block ×4, first 2 shown]
	v_lshlrev_b32_e32 v16, 16, v13
	v_pk_lshrrev_b16 v18, s34, v12
	v_pk_lshrrev_b16 v19, s35, v12
	v_lshl_or_b32 v13, v14, 8, v11
	v_and_b32_e32 v11, 0xffff0000, v20
	v_lshlrev_b32_e32 v14, 16, v17
	v_lshl_or_b32 v12, v15, 24, v16
	v_lshl_or_b32 v15, v18, 8, v11
	;; [unrolled: 1-line block ×3, first 2 shown]
	v_pk_add_f32 v[16:17], v[14:15], v[12:13] neg_lo:[0,1] neg_hi:[0,1]
	v_pk_add_f32 v[12:13], v[14:15], v[12:13]
	v_bfe_u32 v11, v16, 16, 1
	v_bfe_u32 v12, v13, 16, 1
	v_add3_u32 v12, v13, v12, s31
	v_add3_u32 v11, v16, v11, s31
	v_lshrrev_b32_e32 v11, 16, v11
	v_lshrrev_b32_e32 v12, 16, v12
	v_cmp_o_f32_e32 vcc, v13, v13
	v_cmp_o_f32_e64 s[0:1], v16, v16
	v_cndmask_b32_e64 v11, v10, v11, s[0:1]
	v_cndmask_b32_e32 v12, v10, v12, vcc
	v_perm_b32 v11, v12, v11, s33
	global_store_dword v[8:9], v11, off
	s_andn2_b64 exec, exec, s[8:9]
	s_cbranch_execnz .LBB12_2
.LBB12_3:
	s_or_b64 exec, exec, s[2:3]
	s_mul_i32 s8, s21, s13
	v_cmp_gt_i32_e32 vcc, s8, v0
	s_and_saveexec_b64 s[0:1], vcc
	s_cbranch_execz .LBB12_6
; %bb.4:
	s_mul_i32 s0, s6, s11
	s_mul_hi_u32 s1, s6, s10
	s_add_i32 s0, s1, s0
	s_mul_i32 s1, s7, s10
	s_add_i32 s1, s0, s1
	s_mul_i32 s0, s6, s10
	s_lshl_b64 s[0:1], s[0:1], 1
	s_add_u32 s6, s16, s0
	s_addc_u32 s0, s17, s1
	s_abs_i32 s7, s21
	v_cvt_f32_u32_e32 v1, s7
	s_load_dword s1, s[4:5], 0x5c
	s_sub_i32 s2, 0, s7
	s_ashr_i32 s5, s21, 31
	v_rcp_iflag_f32_e32 v1, v1
	s_sub_i32 s11, 0, s21
	s_waitcnt lgkmcnt(0)
	s_and_b32 s4, s1, 0xffff
	s_lshl_b32 s1, s21, 1
	v_mul_f32_e32 v1, 0x4f7ffffe, v1
	v_cvt_u32_f32_e32 v1, v1
	s_sub_i32 s9, 0, s1
	s_lshl_b32 s10, s4, 1
	v_mov_b32_e32 v6, s19
	v_mul_lo_u32 v3, s2, v1
	v_mul_hi_u32 v3, v1, v3
	v_add_u32_e32 v1, v1, v3
	s_mov_b64 s[2:3], 0
	v_mov_b32_e32 v3, s0
	v_mov_b32_e32 v7, s20
	s_movk_i32 s12, 0xff
	s_mov_b32 s13, 0xff000000
	s_movk_i32 s16, 0x7fff
	v_mov_b32_e32 v8, 0x7fc0
	s_mov_b32 s17, 0x5040100
	s_mov_b32 s19, 0x800ff
	s_mov_b32 s20, 0xff0008
.LBB12_5:                               ; =>This Inner Loop Header: Depth=1
	v_sub_u32_e32 v5, 0, v0
	v_max_i32_e32 v5, v0, v5
	v_mul_hi_u32 v9, v5, v1
	v_mul_lo_u32 v10, v9, s7
	v_sub_u32_e32 v5, v5, v10
	v_add_u32_e32 v11, 1, v9
	v_cmp_le_u32_e32 vcc, s7, v5
	v_subrev_u32_e32 v10, s7, v5
	v_cndmask_b32_e32 v9, v9, v11, vcc
	v_cndmask_b32_e32 v5, v5, v10, vcc
	v_ashrrev_i32_e32 v4, 31, v0
	v_add_u32_e32 v10, 1, v9
	v_cmp_le_u32_e32 vcc, s7, v5
	v_xor_b32_e32 v4, s5, v4
	v_cndmask_b32_e32 v5, v9, v10, vcc
	v_xor_b32_e32 v5, v5, v4
	v_sub_u32_e32 v5, v5, v4
	v_mul_lo_u32 v4, v5, s14
	v_mad_u64_u32 v[10:11], s[0:1], s11, v5, v[0:1]
	v_mad_u64_u32 v[12:13], s[0:1], s9, v5, v[2:3]
	v_ashrrev_i32_e32 v5, 31, v4
	v_lshlrev_b64 v[4:5], 1, v[4:5]
	v_ashrrev_i32_e32 v11, 31, v10
	v_add_co_u32_e32 v9, vcc, s6, v4
	v_lshlrev_b64 v[10:11], 1, v[10:11]
	v_addc_co_u32_e32 v14, vcc, v3, v5, vcc
	v_add_co_u32_e32 v4, vcc, s15, v10
	v_addc_co_u32_e32 v5, vcc, v6, v11, vcc
	v_ashrrev_i32_e32 v13, 31, v12
	v_add_co_u32_e32 v10, vcc, s18, v10
	v_lshlrev_b64 v[12:13], 1, v[12:13]
	v_addc_co_u32_e32 v11, vcc, v7, v11, vcc
	global_load_ushort v15, v[4:5], off
	global_load_ushort v16, v[10:11], off
	v_add_co_u32_e32 v4, vcc, v9, v12
	v_addc_co_u32_e32 v5, vcc, v14, v13, vcc
	global_load_dword v9, v[4:5], off
	v_add_u32_e32 v0, s4, v0
	v_cmp_le_i32_e32 vcc, s8, v0
	s_or_b64 s[2:3], vcc, s[2:3]
	v_add_u32_e32 v2, s10, v2
	s_waitcnt vmcnt(2)
	v_and_b32_e32 v11, 0xff, v15
	s_waitcnt vmcnt(1)
	v_and_b32_e32 v13, 0xff, v16
	v_lshrrev_b16_e32 v10, 8, v15
	v_lshrrev_b16_e32 v12, 8, v16
	v_lshlrev_b32_e32 v11, 16, v11
	v_lshlrev_b32_e32 v13, 16, v13
	s_waitcnt vmcnt(0)
	v_and_b32_e32 v15, 0xff, v9
	v_and_b32_sdwa v16, v9, s12 dst_sel:DWORD dst_unused:UNUSED_PAD src0_sel:WORD_1 src1_sel:DWORD
	v_lshrrev_b16_e32 v14, 8, v9
	v_lshlrev_b32_e32 v15, 16, v15
	v_lshl_or_b32 v10, v10, 24, v11
	v_lshlrev_b32_e32 v11, 16, v16
	v_lshl_or_b32 v13, v12, 24, v13
	v_lshl_or_b32 v12, v14, 24, v15
	v_and_or_b32 v14, v9, s13, v11
	v_mov_b32_e32 v16, v13
	v_mov_b32_e32 v17, v10
	;; [unrolled: 1-line block ×3, first 2 shown]
	v_pk_mul_f32 v[14:15], v[16:17], v[14:15] op_sel_hi:[1,0]
	v_pk_mul_f32 v[10:11], v[10:11], v[12:13]
	v_bfe_u32 v9, v14, 16, 1
	v_bfe_u32 v12, v15, 16, 1
	v_add3_u32 v12, v15, v12, s16
	v_add3_u32 v9, v14, v9, s16
	v_bfe_u32 v13, v10, 16, 1
	v_bfe_u32 v16, v11, 16, 1
	v_lshrrev_b32_e32 v9, 16, v9
	v_lshrrev_b32_e32 v12, 16, v12
	v_cmp_o_f32_e32 vcc, v15, v15
	v_add3_u32 v15, v11, v16, s16
	v_add3_u32 v13, v10, v13, s16
	v_cmp_o_f32_e64 s[0:1], v14, v14
	v_cndmask_b32_e64 v9, v8, v9, s[0:1]
	v_cndmask_b32_e32 v12, v8, v12, vcc
	v_lshrrev_b32_e32 v13, 16, v13
	v_lshrrev_b32_e32 v14, 16, v15
	v_cmp_o_f32_e32 vcc, v11, v11
	v_cmp_o_f32_e64 s[0:1], v10, v10
	v_perm_b32 v9, v12, v9, s17
	v_cndmask_b32_e64 v10, v8, v13, s[0:1]
	v_cndmask_b32_e32 v11, v8, v14, vcc
	v_perm_b32 v10, v11, v10, s17
	v_and_b32_e32 v11, 0xff, v9
	v_pk_lshrrev_b16 v12, s19, v9
	v_pk_lshrrev_b16 v13, s20, v9
	v_and_b32_e32 v9, 0xff0000, v9
	v_and_b32_e32 v9, 0xffff0000, v9
	;; [unrolled: 1-line block ×4, first 2 shown]
	v_lshlrev_b32_e32 v14, 16, v11
	v_pk_lshrrev_b16 v16, s19, v10
	v_pk_lshrrev_b16 v17, s20, v10
	v_lshl_or_b32 v11, v12, 8, v9
	v_and_b32_e32 v9, 0xffff0000, v18
	v_lshlrev_b32_e32 v12, 16, v15
	v_lshl_or_b32 v10, v13, 24, v14
	v_lshl_or_b32 v13, v16, 8, v9
	;; [unrolled: 1-line block ×3, first 2 shown]
	v_pk_add_f32 v[14:15], v[12:13], v[10:11] neg_lo:[0,1] neg_hi:[0,1]
	v_pk_add_f32 v[10:11], v[12:13], v[10:11]
	v_bfe_u32 v9, v14, 16, 1
	v_bfe_u32 v10, v11, 16, 1
	v_add3_u32 v10, v11, v10, s16
	v_add3_u32 v9, v14, v9, s16
	v_lshrrev_b32_e32 v9, 16, v9
	v_lshrrev_b32_e32 v10, 16, v10
	v_cmp_o_f32_e32 vcc, v11, v11
	v_cmp_o_f32_e64 s[0:1], v14, v14
	v_cndmask_b32_e64 v9, v8, v9, s[0:1]
	v_cndmask_b32_e32 v10, v8, v10, vcc
	v_perm_b32 v9, v10, v9, s17
	global_store_dword v[4:5], v9, off
	s_andn2_b64 exec, exec, s[2:3]
	s_cbranch_execnz .LBB12_5
.LBB12_6:
	s_endpgm
	.section	.rodata,"a",@progbits
	.p2align	6, 0x0
	.amdhsa_kernel _ZN4vllm23rotary_embedding_kernelIN3c108BFloat16ELb0ELb0EEEvPKlPT_S6_PKS5_S8_illiii
		.amdhsa_group_segment_fixed_size 0
		.amdhsa_private_segment_fixed_size 0
		.amdhsa_kernarg_size 336
		.amdhsa_user_sgpr_count 6
		.amdhsa_user_sgpr_private_segment_buffer 1
		.amdhsa_user_sgpr_dispatch_ptr 0
		.amdhsa_user_sgpr_queue_ptr 0
		.amdhsa_user_sgpr_kernarg_segment_ptr 1
		.amdhsa_user_sgpr_dispatch_id 0
		.amdhsa_user_sgpr_flat_scratch_init 0
		.amdhsa_user_sgpr_kernarg_preload_length 0
		.amdhsa_user_sgpr_kernarg_preload_offset 0
		.amdhsa_user_sgpr_private_segment_size 0
		.amdhsa_uses_dynamic_stack 0
		.amdhsa_system_sgpr_private_segment_wavefront_offset 0
		.amdhsa_system_sgpr_workgroup_id_x 1
		.amdhsa_system_sgpr_workgroup_id_y 0
		.amdhsa_system_sgpr_workgroup_id_z 0
		.amdhsa_system_sgpr_workgroup_info 0
		.amdhsa_system_vgpr_workitem_id 0
		.amdhsa_next_free_vgpr 21
		.amdhsa_next_free_sgpr 36
		.amdhsa_accum_offset 24
		.amdhsa_reserve_vcc 1
		.amdhsa_reserve_flat_scratch 0
		.amdhsa_float_round_mode_32 0
		.amdhsa_float_round_mode_16_64 0
		.amdhsa_float_denorm_mode_32 3
		.amdhsa_float_denorm_mode_16_64 3
		.amdhsa_dx10_clamp 1
		.amdhsa_ieee_mode 1
		.amdhsa_fp16_overflow 0
		.amdhsa_tg_split 0
		.amdhsa_exception_fp_ieee_invalid_op 0
		.amdhsa_exception_fp_denorm_src 0
		.amdhsa_exception_fp_ieee_div_zero 0
		.amdhsa_exception_fp_ieee_overflow 0
		.amdhsa_exception_fp_ieee_underflow 0
		.amdhsa_exception_fp_ieee_inexact 0
		.amdhsa_exception_int_div_zero 0
	.end_amdhsa_kernel
	.section	.text._ZN4vllm23rotary_embedding_kernelIN3c108BFloat16ELb0ELb0EEEvPKlPT_S6_PKS5_S8_illiii,"axG",@progbits,_ZN4vllm23rotary_embedding_kernelIN3c108BFloat16ELb0ELb0EEEvPKlPT_S6_PKS5_S8_illiii,comdat
.Lfunc_end12:
	.size	_ZN4vllm23rotary_embedding_kernelIN3c108BFloat16ELb0ELb0EEEvPKlPT_S6_PKS5_S8_illiii, .Lfunc_end12-_ZN4vllm23rotary_embedding_kernelIN3c108BFloat16ELb0ELb0EEEvPKlPT_S6_PKS5_S8_illiii
                                        ; -- End function
	.section	.AMDGPU.csdata,"",@progbits
; Kernel info:
; codeLenInByte = 1996
; NumSgprs: 40
; NumVgprs: 21
; NumAgprs: 0
; TotalNumVgprs: 21
; ScratchSize: 0
; MemoryBound: 0
; FloatMode: 240
; IeeeMode: 1
; LDSByteSize: 0 bytes/workgroup (compile time only)
; SGPRBlocks: 4
; VGPRBlocks: 2
; NumSGPRsForWavesPerEU: 40
; NumVGPRsForWavesPerEU: 21
; AccumOffset: 24
; Occupancy: 8
; WaveLimiterHint : 1
; COMPUTE_PGM_RSRC2:SCRATCH_EN: 0
; COMPUTE_PGM_RSRC2:USER_SGPR: 6
; COMPUTE_PGM_RSRC2:TRAP_HANDLER: 0
; COMPUTE_PGM_RSRC2:TGID_X_EN: 1
; COMPUTE_PGM_RSRC2:TGID_Y_EN: 0
; COMPUTE_PGM_RSRC2:TGID_Z_EN: 0
; COMPUTE_PGM_RSRC2:TIDIG_COMP_CNT: 0
; COMPUTE_PGM_RSRC3_GFX90A:ACCUM_OFFSET: 5
; COMPUTE_PGM_RSRC3_GFX90A:TG_SPLIT: 0
	.section	.text._ZN4vllm31batched_rotary_embedding_kernelIfLb1ELb1EEEvPKlPT_S4_PKS3_S6_S2_illiii,"axG",@progbits,_ZN4vllm31batched_rotary_embedding_kernelIfLb1ELb1EEEvPKlPT_S4_PKS3_S6_S2_illiii,comdat
	.protected	_ZN4vllm31batched_rotary_embedding_kernelIfLb1ELb1EEEvPKlPT_S4_PKS3_S6_S2_illiii ; -- Begin function _ZN4vllm31batched_rotary_embedding_kernelIfLb1ELb1EEEvPKlPT_S4_PKS3_S6_S2_illiii
	.globl	_ZN4vllm31batched_rotary_embedding_kernelIfLb1ELb1EEEvPKlPT_S4_PKS3_S6_S2_illiii
	.p2align	8
	.type	_ZN4vllm31batched_rotary_embedding_kernelIfLb1ELb1EEEvPKlPT_S4_PKS3_S6_S2_illiii,@function
_ZN4vllm31batched_rotary_embedding_kernelIfLb1ELb1EEEvPKlPT_S4_PKS3_S6_S2_illiii: ; @_ZN4vllm31batched_rotary_embedding_kernelIfLb1ELb1EEEvPKlPT_S4_PKS3_S6_S2_illiii
; %bb.0:
	s_load_dword s25, s[4:5], 0x30
	s_load_dwordx2 s[0:1], s[4:5], 0x0
	s_load_dwordx8 s[16:23], s[4:5], 0x10
	s_ashr_i32 s7, s6, 31
	s_lshl_b64 s[2:3], s[6:7], 3
	s_waitcnt lgkmcnt(0)
	s_ashr_i32 s24, s25, 31
	s_add_u32 s0, s0, s2
	s_addc_u32 s1, s1, s3
	s_add_u32 s2, s22, s2
	s_load_dwordx2 s[0:1], s[0:1], 0x0
	s_addc_u32 s3, s23, s3
	s_load_dwordx2 s[22:23], s[2:3], 0x0
	s_load_dwordx8 s[8:15], s[4:5], 0x38
	s_waitcnt lgkmcnt(0)
	s_add_u32 s0, s22, s0
	s_addc_u32 s1, s23, s1
	s_mul_i32 s2, s0, s24
	s_mul_hi_u32 s3, s0, s25
	s_add_i32 s2, s3, s2
	s_mul_i32 s1, s1, s25
	s_add_i32 s2, s2, s1
	s_mul_i32 s0, s0, s25
	s_lshr_b32 s1, s2, 31
	s_add_u32 s0, s0, s1
	s_addc_u32 s1, s2, 0
	s_lshl_b64 s[0:1], s[0:1], 1
	s_and_b32 s0, s0, -4
	s_add_u32 s15, s18, s0
	s_addc_u32 s23, s19, s1
	s_add_u32 s22, s20, s0
	s_addc_u32 s24, s21, s1
	s_lshr_b32 s0, s25, 31
	s_add_i32 s0, s25, s0
	s_ashr_i32 s0, s0, 1
	s_mul_i32 s12, s0, s12
	s_sub_i32 s2, s14, s25
	s_ashr_i32 s3, s2, 31
	v_cmp_gt_i32_e32 vcc, s12, v0
	s_and_saveexec_b64 s[18:19], vcc
	s_cbranch_execz .LBB13_3
; %bb.1:
	s_load_dwordx2 s[20:21], s[4:5], 0x8
	s_load_dword s28, s[4:5], 0x64
	s_lshl_b64 s[26:27], s[2:3], 2
	s_mul_i32 s1, s6, s9
	s_mul_hi_u32 s9, s6, s8
	s_waitcnt lgkmcnt(0)
	s_add_u32 s20, s20, s26
	s_addc_u32 s21, s21, s27
	s_add_i32 s1, s9, s1
	s_mul_i32 s9, s7, s8
	s_add_i32 s9, s1, s9
	s_mul_i32 s8, s6, s8
	s_lshl_b64 s[8:9], s[8:9], 2
	s_add_u32 s25, s20, s8
	s_addc_u32 s20, s21, s9
	s_abs_i32 s26, s0
	v_cvt_f32_u32_e32 v1, s26
	s_sub_i32 s21, 0, s26
	s_ashr_i32 s1, s0, 31
	v_mov_b32_e32 v3, s20
	v_rcp_iflag_f32_e32 v1, v1
	s_mov_b64 s[8:9], 0
	s_and_b32 s27, s28, 0xffff
	s_sub_i32 s28, 0, s0
	v_mul_f32_e32 v1, 0x4f7ffffe, v1
	v_cvt_u32_f32_e32 v1, v1
	v_mov_b32_e32 v4, s23
	v_mov_b32_e32 v5, s24
	v_mul_lo_u32 v2, s21, v1
	v_mul_hi_u32 v2, v1, v2
	s_lshl_b64 s[20:21], s[0:1], 2
	v_add_u32_e32 v1, v1, v2
	v_mov_b32_e32 v6, s21
	v_mov_b32_e32 v2, v0
.LBB13_2:                               ; =>This Inner Loop Header: Depth=1
	v_sub_u32_e32 v8, 0, v2
	v_max_i32_e32 v8, v2, v8
	v_mul_hi_u32 v9, v8, v1
	v_mul_lo_u32 v10, v9, s26
	v_sub_u32_e32 v8, v8, v10
	v_add_u32_e32 v11, 1, v9
	v_cmp_le_u32_e32 vcc, s26, v8
	v_subrev_u32_e32 v10, s26, v8
	v_cndmask_b32_e32 v9, v9, v11, vcc
	v_cndmask_b32_e32 v8, v8, v10, vcc
	v_ashrrev_i32_e32 v7, 31, v2
	v_add_u32_e32 v10, 1, v9
	v_cmp_le_u32_e32 vcc, s26, v8
	v_xor_b32_e32 v7, s1, v7
	v_cndmask_b32_e32 v8, v9, v10, vcc
	v_xor_b32_e32 v8, v8, v7
	v_sub_u32_e32 v7, v8, v7
	v_mul_lo_u32 v8, v7, s14
	v_ashrrev_i32_e32 v9, 31, v8
	v_mad_u64_u32 v[10:11], s[30:31], s28, v7, v[2:3]
	v_lshlrev_b64 v[8:9], 2, v[8:9]
	v_ashrrev_i32_e32 v11, 31, v10
	v_add_co_u32_e32 v7, vcc, s25, v8
	v_lshlrev_b64 v[10:11], 2, v[10:11]
	v_addc_co_u32_e32 v14, vcc, v3, v9, vcc
	v_add_co_u32_e32 v8, vcc, s15, v10
	v_addc_co_u32_e32 v9, vcc, v4, v11, vcc
	v_add_co_u32_e32 v12, vcc, s22, v10
	v_addc_co_u32_e32 v13, vcc, v5, v11, vcc
	global_load_dword v15, v[8:9], off
	global_load_dword v16, v[12:13], off
	v_add_co_u32_e32 v8, vcc, v7, v10
	v_addc_co_u32_e32 v9, vcc, v14, v11, vcc
	v_add_co_u32_e32 v10, vcc, s20, v8
	v_addc_co_u32_e32 v11, vcc, v9, v6, vcc
	global_load_dword v7, v[8:9], off
	global_load_dword v12, v[10:11], off
	v_add_u32_e32 v2, s27, v2
	v_cmp_le_i32_e32 vcc, s12, v2
	s_or_b64 s[8:9], vcc, s[8:9]
	s_waitcnt vmcnt(0)
	v_mul_f32_e32 v13, v16, v12
	v_mul_f32_e32 v12, v15, v12
	v_fma_f32 v13, v15, v7, -v13
	v_fmac_f32_e32 v12, v16, v7
	global_store_dword v[8:9], v13, off
	global_store_dword v[10:11], v12, off
	s_andn2_b64 exec, exec, s[8:9]
	s_cbranch_execnz .LBB13_2
.LBB13_3:
	s_or_b64 exec, exec, s[18:19]
	s_mul_i32 s8, s0, s13
	v_cmp_gt_i32_e32 vcc, s8, v0
	s_and_saveexec_b64 s[12:13], vcc
	s_cbranch_execz .LBB13_6
; %bb.4:
	s_lshl_b64 s[2:3], s[2:3], 2
	s_add_u32 s1, s16, s2
	s_addc_u32 s9, s17, s3
	s_mul_i32 s2, s6, s11
	s_mul_hi_u32 s3, s6, s10
	s_add_i32 s2, s3, s2
	s_mul_i32 s3, s7, s10
	s_add_i32 s3, s2, s3
	s_mul_i32 s2, s6, s10
	s_lshl_b64 s[2:3], s[2:3], 2
	s_add_u32 s6, s1, s2
	s_addc_u32 s11, s9, s3
	s_abs_i32 s7, s0
	v_cvt_f32_u32_e32 v1, s7
	s_load_dword s1, s[4:5], 0x64
	s_sub_i32 s2, 0, s7
	s_sub_i32 s10, 0, s0
	v_rcp_iflag_f32_e32 v1, v1
	v_mov_b32_e32 v3, s23
	s_waitcnt lgkmcnt(0)
	s_and_b32 s9, s1, 0xffff
	s_ashr_i32 s1, s0, 31
	v_mul_f32_e32 v1, 0x4f7ffffe, v1
	v_cvt_u32_f32_e32 v1, v1
	s_lshl_b64 s[4:5], s[0:1], 2
	v_mov_b32_e32 v4, s24
	v_mov_b32_e32 v5, s5
	v_mul_lo_u32 v2, s2, v1
	v_mul_hi_u32 v2, v1, v2
	v_add_u32_e32 v1, v1, v2
	s_mov_b64 s[2:3], 0
	v_mov_b32_e32 v2, s11
.LBB13_5:                               ; =>This Inner Loop Header: Depth=1
	v_sub_u32_e32 v7, 0, v0
	v_max_i32_e32 v7, v0, v7
	v_mul_hi_u32 v8, v7, v1
	v_mul_lo_u32 v9, v8, s7
	v_sub_u32_e32 v7, v7, v9
	v_add_u32_e32 v10, 1, v8
	v_cmp_le_u32_e32 vcc, s7, v7
	v_subrev_u32_e32 v9, s7, v7
	v_cndmask_b32_e32 v8, v8, v10, vcc
	v_cndmask_b32_e32 v7, v7, v9, vcc
	v_ashrrev_i32_e32 v6, 31, v0
	v_add_u32_e32 v9, 1, v8
	v_cmp_le_u32_e32 vcc, s7, v7
	v_xor_b32_e32 v6, s1, v6
	v_cndmask_b32_e32 v7, v8, v9, vcc
	v_xor_b32_e32 v7, v7, v6
	v_sub_u32_e32 v7, v7, v6
	v_mul_lo_u32 v6, v7, s14
	v_mad_u64_u32 v[8:9], s[12:13], s10, v7, v[0:1]
	v_ashrrev_i32_e32 v7, 31, v6
	v_lshlrev_b64 v[6:7], 2, v[6:7]
	v_ashrrev_i32_e32 v9, 31, v8
	v_add_co_u32_e32 v12, vcc, s6, v6
	v_lshlrev_b64 v[8:9], 2, v[8:9]
	v_addc_co_u32_e32 v13, vcc, v2, v7, vcc
	v_add_co_u32_e32 v6, vcc, s15, v8
	v_addc_co_u32_e32 v7, vcc, v3, v9, vcc
	v_add_co_u32_e32 v10, vcc, s22, v8
	v_addc_co_u32_e32 v11, vcc, v4, v9, vcc
	global_load_dword v14, v[6:7], off
	global_load_dword v15, v[10:11], off
	v_add_co_u32_e32 v6, vcc, v12, v8
	v_addc_co_u32_e32 v7, vcc, v13, v9, vcc
	v_add_co_u32_e32 v8, vcc, s4, v6
	v_addc_co_u32_e32 v9, vcc, v7, v5, vcc
	global_load_dword v10, v[6:7], off
	global_load_dword v11, v[8:9], off
	v_add_u32_e32 v0, s9, v0
	v_cmp_le_i32_e32 vcc, s8, v0
	s_or_b64 s[2:3], vcc, s[2:3]
	s_waitcnt vmcnt(0)
	v_mul_f32_e32 v12, v15, v11
	v_mul_f32_e32 v11, v14, v11
	v_fma_f32 v12, v14, v10, -v12
	v_fmac_f32_e32 v11, v15, v10
	global_store_dword v[6:7], v12, off
	global_store_dword v[8:9], v11, off
	s_andn2_b64 exec, exec, s[2:3]
	s_cbranch_execnz .LBB13_5
.LBB13_6:
	s_endpgm
	.section	.rodata,"a",@progbits
	.p2align	6, 0x0
	.amdhsa_kernel _ZN4vllm31batched_rotary_embedding_kernelIfLb1ELb1EEEvPKlPT_S4_PKS3_S6_S2_illiii
		.amdhsa_group_segment_fixed_size 0
		.amdhsa_private_segment_fixed_size 0
		.amdhsa_kernarg_size 344
		.amdhsa_user_sgpr_count 6
		.amdhsa_user_sgpr_private_segment_buffer 1
		.amdhsa_user_sgpr_dispatch_ptr 0
		.amdhsa_user_sgpr_queue_ptr 0
		.amdhsa_user_sgpr_kernarg_segment_ptr 1
		.amdhsa_user_sgpr_dispatch_id 0
		.amdhsa_user_sgpr_flat_scratch_init 0
		.amdhsa_user_sgpr_kernarg_preload_length 0
		.amdhsa_user_sgpr_kernarg_preload_offset 0
		.amdhsa_user_sgpr_private_segment_size 0
		.amdhsa_uses_dynamic_stack 0
		.amdhsa_system_sgpr_private_segment_wavefront_offset 0
		.amdhsa_system_sgpr_workgroup_id_x 1
		.amdhsa_system_sgpr_workgroup_id_y 0
		.amdhsa_system_sgpr_workgroup_id_z 0
		.amdhsa_system_sgpr_workgroup_info 0
		.amdhsa_system_vgpr_workitem_id 0
		.amdhsa_next_free_vgpr 17
		.amdhsa_next_free_sgpr 32
		.amdhsa_accum_offset 20
		.amdhsa_reserve_vcc 1
		.amdhsa_reserve_flat_scratch 0
		.amdhsa_float_round_mode_32 0
		.amdhsa_float_round_mode_16_64 0
		.amdhsa_float_denorm_mode_32 3
		.amdhsa_float_denorm_mode_16_64 3
		.amdhsa_dx10_clamp 1
		.amdhsa_ieee_mode 1
		.amdhsa_fp16_overflow 0
		.amdhsa_tg_split 0
		.amdhsa_exception_fp_ieee_invalid_op 0
		.amdhsa_exception_fp_denorm_src 0
		.amdhsa_exception_fp_ieee_div_zero 0
		.amdhsa_exception_fp_ieee_overflow 0
		.amdhsa_exception_fp_ieee_underflow 0
		.amdhsa_exception_fp_ieee_inexact 0
		.amdhsa_exception_int_div_zero 0
	.end_amdhsa_kernel
	.section	.text._ZN4vllm31batched_rotary_embedding_kernelIfLb1ELb1EEEvPKlPT_S4_PKS3_S6_S2_illiii,"axG",@progbits,_ZN4vllm31batched_rotary_embedding_kernelIfLb1ELb1EEEvPKlPT_S4_PKS3_S6_S2_illiii,comdat
.Lfunc_end13:
	.size	_ZN4vllm31batched_rotary_embedding_kernelIfLb1ELb1EEEvPKlPT_S4_PKS3_S6_S2_illiii, .Lfunc_end13-_ZN4vllm31batched_rotary_embedding_kernelIfLb1ELb1EEEvPKlPT_S4_PKS3_S6_S2_illiii
                                        ; -- End function
	.section	.AMDGPU.csdata,"",@progbits
; Kernel info:
; codeLenInByte = 1016
; NumSgprs: 36
; NumVgprs: 17
; NumAgprs: 0
; TotalNumVgprs: 17
; ScratchSize: 0
; MemoryBound: 0
; FloatMode: 240
; IeeeMode: 1
; LDSByteSize: 0 bytes/workgroup (compile time only)
; SGPRBlocks: 4
; VGPRBlocks: 2
; NumSGPRsForWavesPerEU: 36
; NumVGPRsForWavesPerEU: 17
; AccumOffset: 20
; Occupancy: 8
; WaveLimiterHint : 1
; COMPUTE_PGM_RSRC2:SCRATCH_EN: 0
; COMPUTE_PGM_RSRC2:USER_SGPR: 6
; COMPUTE_PGM_RSRC2:TRAP_HANDLER: 0
; COMPUTE_PGM_RSRC2:TGID_X_EN: 1
; COMPUTE_PGM_RSRC2:TGID_Y_EN: 0
; COMPUTE_PGM_RSRC2:TGID_Z_EN: 0
; COMPUTE_PGM_RSRC2:TIDIG_COMP_CNT: 0
; COMPUTE_PGM_RSRC3_GFX90A:ACCUM_OFFSET: 4
; COMPUTE_PGM_RSRC3_GFX90A:TG_SPLIT: 0
	.section	.text._ZN4vllm31batched_rotary_embedding_kernelIfLb1ELb0EEEvPKlPT_S4_PKS3_S6_S2_illiii,"axG",@progbits,_ZN4vllm31batched_rotary_embedding_kernelIfLb1ELb0EEEvPKlPT_S4_PKS3_S6_S2_illiii,comdat
	.protected	_ZN4vllm31batched_rotary_embedding_kernelIfLb1ELb0EEEvPKlPT_S4_PKS3_S6_S2_illiii ; -- Begin function _ZN4vllm31batched_rotary_embedding_kernelIfLb1ELb0EEEvPKlPT_S4_PKS3_S6_S2_illiii
	.globl	_ZN4vllm31batched_rotary_embedding_kernelIfLb1ELb0EEEvPKlPT_S4_PKS3_S6_S2_illiii
	.p2align	8
	.type	_ZN4vllm31batched_rotary_embedding_kernelIfLb1ELb0EEEvPKlPT_S4_PKS3_S6_S2_illiii,@function
_ZN4vllm31batched_rotary_embedding_kernelIfLb1ELb0EEEvPKlPT_S4_PKS3_S6_S2_illiii: ; @_ZN4vllm31batched_rotary_embedding_kernelIfLb1ELb0EEEvPKlPT_S4_PKS3_S6_S2_illiii
; %bb.0:
	s_load_dword s24, s[4:5], 0x30
	s_load_dwordx2 s[0:1], s[4:5], 0x0
	s_load_dwordx8 s[16:23], s[4:5], 0x10
	s_ashr_i32 s7, s6, 31
	s_lshl_b64 s[2:3], s[6:7], 3
	s_waitcnt lgkmcnt(0)
	s_ashr_i32 s25, s24, 31
	s_add_u32 s0, s0, s2
	s_addc_u32 s1, s1, s3
	s_add_u32 s2, s22, s2
	s_load_dwordx2 s[0:1], s[0:1], 0x0
	s_addc_u32 s3, s23, s3
	s_load_dwordx2 s[22:23], s[2:3], 0x0
	s_load_dwordx8 s[8:15], s[4:5], 0x38
	s_waitcnt lgkmcnt(0)
	s_add_u32 s0, s22, s0
	s_addc_u32 s1, s23, s1
	s_mul_i32 s2, s0, s25
	s_mul_hi_u32 s3, s0, s24
	s_add_i32 s2, s3, s2
	s_mul_i32 s1, s1, s24
	s_add_i32 s2, s2, s1
	s_mul_i32 s0, s0, s24
	s_lshr_b32 s1, s2, 31
	s_add_u32 s0, s0, s1
	s_addc_u32 s1, s2, 0
	s_lshl_b64 s[0:1], s[0:1], 1
	s_and_b32 s0, s0, -4
	s_add_u32 s15, s18, s0
	s_addc_u32 s22, s19, s1
	s_add_u32 s20, s20, s0
	s_addc_u32 s21, s21, s1
	s_lshr_b32 s0, s24, 31
	s_add_i32 s24, s24, s0
	s_ashr_i32 s0, s24, 1
	s_mul_i32 s12, s0, s12
	v_cmp_gt_i32_e32 vcc, s12, v0
	s_and_saveexec_b64 s[2:3], vcc
	s_cbranch_execz .LBB14_3
; %bb.1:
	s_load_dwordx2 s[18:19], s[4:5], 0x8
	s_mul_i32 s1, s6, s9
	s_mul_hi_u32 s9, s6, s8
	s_add_i32 s1, s9, s1
	s_mul_i32 s9, s7, s8
	s_add_i32 s9, s1, s9
	s_load_dword s1, s[4:5], 0x64
	s_mul_i32 s8, s6, s8
	s_lshl_b64 s[8:9], s[8:9], 2
	s_waitcnt lgkmcnt(0)
	s_add_u32 s23, s18, s8
	s_addc_u32 s18, s19, s9
	s_abs_i32 s24, s0
	v_cvt_f32_u32_e32 v1, s24
	s_sub_i32 s8, 0, s24
	s_and_b32 s25, s1, 0xffff
	s_ashr_i32 s1, s0, 31
	v_rcp_iflag_f32_e32 v1, v1
	v_mov_b32_e32 v3, s18
	s_lshl_b64 s[18:19], s[0:1], 2
	s_sub_i32 s26, 0, s0
	v_mul_f32_e32 v1, 0x4f7ffffe, v1
	v_cvt_u32_f32_e32 v1, v1
	v_mov_b32_e32 v4, s22
	v_mov_b32_e32 v5, s21
	;; [unrolled: 1-line block ×3, first 2 shown]
	v_mul_lo_u32 v2, s8, v1
	v_mul_hi_u32 v2, v1, v2
	v_add_u32_e32 v1, v1, v2
	s_mov_b64 s[8:9], 0
	v_mov_b32_e32 v2, v0
.LBB14_2:                               ; =>This Inner Loop Header: Depth=1
	v_sub_u32_e32 v8, 0, v2
	v_max_i32_e32 v8, v2, v8
	v_mul_hi_u32 v9, v8, v1
	v_mul_lo_u32 v10, v9, s24
	v_sub_u32_e32 v8, v8, v10
	v_add_u32_e32 v11, 1, v9
	v_cmp_le_u32_e32 vcc, s24, v8
	v_subrev_u32_e32 v10, s24, v8
	v_cndmask_b32_e32 v9, v9, v11, vcc
	v_cndmask_b32_e32 v8, v8, v10, vcc
	v_ashrrev_i32_e32 v7, 31, v2
	v_add_u32_e32 v10, 1, v9
	v_cmp_le_u32_e32 vcc, s24, v8
	v_xor_b32_e32 v7, s1, v7
	v_cndmask_b32_e32 v8, v9, v10, vcc
	v_xor_b32_e32 v8, v8, v7
	v_sub_u32_e32 v7, v8, v7
	v_mul_lo_u32 v8, v7, s14
	v_ashrrev_i32_e32 v9, 31, v8
	v_mad_u64_u32 v[10:11], s[28:29], s26, v7, v[2:3]
	v_lshlrev_b64 v[8:9], 2, v[8:9]
	v_ashrrev_i32_e32 v11, 31, v10
	v_add_co_u32_e32 v7, vcc, s23, v8
	v_lshlrev_b64 v[10:11], 2, v[10:11]
	v_addc_co_u32_e32 v14, vcc, v3, v9, vcc
	v_add_co_u32_e32 v8, vcc, s15, v10
	v_addc_co_u32_e32 v9, vcc, v4, v11, vcc
	v_add_co_u32_e32 v12, vcc, s20, v10
	v_addc_co_u32_e32 v13, vcc, v5, v11, vcc
	global_load_dword v15, v[8:9], off
	global_load_dword v16, v[12:13], off
	v_add_co_u32_e32 v8, vcc, v7, v10
	v_addc_co_u32_e32 v9, vcc, v14, v11, vcc
	v_add_co_u32_e32 v10, vcc, s18, v8
	v_addc_co_u32_e32 v11, vcc, v9, v6, vcc
	global_load_dword v7, v[8:9], off
	global_load_dword v12, v[10:11], off
	v_add_u32_e32 v2, s25, v2
	v_cmp_le_i32_e32 vcc, s12, v2
	s_or_b64 s[8:9], vcc, s[8:9]
	s_waitcnt vmcnt(0)
	v_mul_f32_e32 v13, v16, v12
	v_mul_f32_e32 v12, v15, v12
	v_fma_f32 v13, v15, v7, -v13
	v_fmac_f32_e32 v12, v16, v7
	global_store_dword v[8:9], v13, off
	global_store_dword v[10:11], v12, off
	s_andn2_b64 exec, exec, s[8:9]
	s_cbranch_execnz .LBB14_2
.LBB14_3:
	s_or_b64 exec, exec, s[2:3]
	s_mul_i32 s8, s0, s13
	v_cmp_gt_i32_e32 vcc, s8, v0
	s_and_saveexec_b64 s[2:3], vcc
	s_cbranch_execz .LBB14_6
; %bb.4:
	s_mul_i32 s1, s6, s11
	s_mul_hi_u32 s2, s6, s10
	s_add_i32 s1, s2, s1
	s_mul_i32 s2, s7, s10
	s_add_i32 s3, s1, s2
	s_mul_i32 s2, s6, s10
	s_lshl_b64 s[2:3], s[2:3], 2
	s_add_u32 s6, s16, s2
	s_addc_u32 s11, s17, s3
	s_abs_i32 s7, s0
	v_cvt_f32_u32_e32 v1, s7
	s_load_dword s1, s[4:5], 0x64
	s_sub_i32 s2, 0, s7
	s_sub_i32 s10, 0, s0
	v_rcp_iflag_f32_e32 v1, v1
	v_mov_b32_e32 v3, s22
	s_waitcnt lgkmcnt(0)
	s_and_b32 s9, s1, 0xffff
	s_ashr_i32 s1, s0, 31
	v_mul_f32_e32 v1, 0x4f7ffffe, v1
	v_cvt_u32_f32_e32 v1, v1
	s_lshl_b64 s[4:5], s[0:1], 2
	v_mov_b32_e32 v4, s21
	v_mov_b32_e32 v5, s5
	v_mul_lo_u32 v2, s2, v1
	v_mul_hi_u32 v2, v1, v2
	v_add_u32_e32 v1, v1, v2
	s_mov_b64 s[2:3], 0
	v_mov_b32_e32 v2, s11
.LBB14_5:                               ; =>This Inner Loop Header: Depth=1
	v_sub_u32_e32 v7, 0, v0
	v_max_i32_e32 v7, v0, v7
	v_mul_hi_u32 v8, v7, v1
	v_mul_lo_u32 v9, v8, s7
	v_sub_u32_e32 v7, v7, v9
	v_add_u32_e32 v10, 1, v8
	v_cmp_le_u32_e32 vcc, s7, v7
	v_subrev_u32_e32 v9, s7, v7
	v_cndmask_b32_e32 v8, v8, v10, vcc
	v_cndmask_b32_e32 v7, v7, v9, vcc
	v_ashrrev_i32_e32 v6, 31, v0
	v_add_u32_e32 v9, 1, v8
	v_cmp_le_u32_e32 vcc, s7, v7
	v_xor_b32_e32 v6, s1, v6
	v_cndmask_b32_e32 v7, v8, v9, vcc
	v_xor_b32_e32 v7, v7, v6
	v_sub_u32_e32 v7, v7, v6
	v_mul_lo_u32 v6, v7, s14
	v_mad_u64_u32 v[8:9], s[12:13], s10, v7, v[0:1]
	v_ashrrev_i32_e32 v7, 31, v6
	v_lshlrev_b64 v[6:7], 2, v[6:7]
	v_ashrrev_i32_e32 v9, 31, v8
	v_add_co_u32_e32 v12, vcc, s6, v6
	v_lshlrev_b64 v[8:9], 2, v[8:9]
	v_addc_co_u32_e32 v13, vcc, v2, v7, vcc
	v_add_co_u32_e32 v6, vcc, s15, v8
	v_addc_co_u32_e32 v7, vcc, v3, v9, vcc
	v_add_co_u32_e32 v10, vcc, s20, v8
	v_addc_co_u32_e32 v11, vcc, v4, v9, vcc
	global_load_dword v14, v[6:7], off
	global_load_dword v15, v[10:11], off
	v_add_co_u32_e32 v6, vcc, v12, v8
	v_addc_co_u32_e32 v7, vcc, v13, v9, vcc
	v_add_co_u32_e32 v8, vcc, s4, v6
	v_addc_co_u32_e32 v9, vcc, v7, v5, vcc
	global_load_dword v10, v[6:7], off
	global_load_dword v11, v[8:9], off
	v_add_u32_e32 v0, s9, v0
	v_cmp_le_i32_e32 vcc, s8, v0
	s_or_b64 s[2:3], vcc, s[2:3]
	s_waitcnt vmcnt(0)
	v_mul_f32_e32 v12, v15, v11
	v_mul_f32_e32 v11, v14, v11
	v_fma_f32 v12, v14, v10, -v12
	v_fmac_f32_e32 v11, v15, v10
	global_store_dword v[6:7], v12, off
	global_store_dword v[8:9], v11, off
	s_andn2_b64 exec, exec, s[2:3]
	s_cbranch_execnz .LBB14_5
.LBB14_6:
	s_endpgm
	.section	.rodata,"a",@progbits
	.p2align	6, 0x0
	.amdhsa_kernel _ZN4vllm31batched_rotary_embedding_kernelIfLb1ELb0EEEvPKlPT_S4_PKS3_S6_S2_illiii
		.amdhsa_group_segment_fixed_size 0
		.amdhsa_private_segment_fixed_size 0
		.amdhsa_kernarg_size 344
		.amdhsa_user_sgpr_count 6
		.amdhsa_user_sgpr_private_segment_buffer 1
		.amdhsa_user_sgpr_dispatch_ptr 0
		.amdhsa_user_sgpr_queue_ptr 0
		.amdhsa_user_sgpr_kernarg_segment_ptr 1
		.amdhsa_user_sgpr_dispatch_id 0
		.amdhsa_user_sgpr_flat_scratch_init 0
		.amdhsa_user_sgpr_kernarg_preload_length 0
		.amdhsa_user_sgpr_kernarg_preload_offset 0
		.amdhsa_user_sgpr_private_segment_size 0
		.amdhsa_uses_dynamic_stack 0
		.amdhsa_system_sgpr_private_segment_wavefront_offset 0
		.amdhsa_system_sgpr_workgroup_id_x 1
		.amdhsa_system_sgpr_workgroup_id_y 0
		.amdhsa_system_sgpr_workgroup_id_z 0
		.amdhsa_system_sgpr_workgroup_info 0
		.amdhsa_system_vgpr_workitem_id 0
		.amdhsa_next_free_vgpr 17
		.amdhsa_next_free_sgpr 30
		.amdhsa_accum_offset 20
		.amdhsa_reserve_vcc 1
		.amdhsa_reserve_flat_scratch 0
		.amdhsa_float_round_mode_32 0
		.amdhsa_float_round_mode_16_64 0
		.amdhsa_float_denorm_mode_32 3
		.amdhsa_float_denorm_mode_16_64 3
		.amdhsa_dx10_clamp 1
		.amdhsa_ieee_mode 1
		.amdhsa_fp16_overflow 0
		.amdhsa_tg_split 0
		.amdhsa_exception_fp_ieee_invalid_op 0
		.amdhsa_exception_fp_denorm_src 0
		.amdhsa_exception_fp_ieee_div_zero 0
		.amdhsa_exception_fp_ieee_overflow 0
		.amdhsa_exception_fp_ieee_underflow 0
		.amdhsa_exception_fp_ieee_inexact 0
		.amdhsa_exception_int_div_zero 0
	.end_amdhsa_kernel
	.section	.text._ZN4vllm31batched_rotary_embedding_kernelIfLb1ELb0EEEvPKlPT_S4_PKS3_S6_S2_illiii,"axG",@progbits,_ZN4vllm31batched_rotary_embedding_kernelIfLb1ELb0EEEvPKlPT_S4_PKS3_S6_S2_illiii,comdat
.Lfunc_end14:
	.size	_ZN4vllm31batched_rotary_embedding_kernelIfLb1ELb0EEEvPKlPT_S4_PKS3_S6_S2_illiii, .Lfunc_end14-_ZN4vllm31batched_rotary_embedding_kernelIfLb1ELb0EEEvPKlPT_S4_PKS3_S6_S2_illiii
                                        ; -- End function
	.section	.AMDGPU.csdata,"",@progbits
; Kernel info:
; codeLenInByte = 984
; NumSgprs: 34
; NumVgprs: 17
; NumAgprs: 0
; TotalNumVgprs: 17
; ScratchSize: 0
; MemoryBound: 0
; FloatMode: 240
; IeeeMode: 1
; LDSByteSize: 0 bytes/workgroup (compile time only)
; SGPRBlocks: 4
; VGPRBlocks: 2
; NumSGPRsForWavesPerEU: 34
; NumVGPRsForWavesPerEU: 17
; AccumOffset: 20
; Occupancy: 8
; WaveLimiterHint : 1
; COMPUTE_PGM_RSRC2:SCRATCH_EN: 0
; COMPUTE_PGM_RSRC2:USER_SGPR: 6
; COMPUTE_PGM_RSRC2:TRAP_HANDLER: 0
; COMPUTE_PGM_RSRC2:TGID_X_EN: 1
; COMPUTE_PGM_RSRC2:TGID_Y_EN: 0
; COMPUTE_PGM_RSRC2:TGID_Z_EN: 0
; COMPUTE_PGM_RSRC2:TIDIG_COMP_CNT: 0
; COMPUTE_PGM_RSRC3_GFX90A:ACCUM_OFFSET: 4
; COMPUTE_PGM_RSRC3_GFX90A:TG_SPLIT: 0
	.section	.text._ZN4vllm31batched_rotary_embedding_kernelIfLb0ELb1EEEvPKlPT_S4_PKS3_S6_S2_illiii,"axG",@progbits,_ZN4vllm31batched_rotary_embedding_kernelIfLb0ELb1EEEvPKlPT_S4_PKS3_S6_S2_illiii,comdat
	.protected	_ZN4vllm31batched_rotary_embedding_kernelIfLb0ELb1EEEvPKlPT_S4_PKS3_S6_S2_illiii ; -- Begin function _ZN4vllm31batched_rotary_embedding_kernelIfLb0ELb1EEEvPKlPT_S4_PKS3_S6_S2_illiii
	.globl	_ZN4vllm31batched_rotary_embedding_kernelIfLb0ELb1EEEvPKlPT_S4_PKS3_S6_S2_illiii
	.p2align	8
	.type	_ZN4vllm31batched_rotary_embedding_kernelIfLb0ELb1EEEvPKlPT_S4_PKS3_S6_S2_illiii,@function
_ZN4vllm31batched_rotary_embedding_kernelIfLb0ELb1EEEvPKlPT_S4_PKS3_S6_S2_illiii: ; @_ZN4vllm31batched_rotary_embedding_kernelIfLb0ELb1EEEvPKlPT_S4_PKS3_S6_S2_illiii
; %bb.0:
	s_load_dword s24, s[4:5], 0x30
	s_load_dwordx2 s[0:1], s[4:5], 0x0
	s_load_dwordx8 s[16:23], s[4:5], 0x10
	s_ashr_i32 s7, s6, 31
	s_lshl_b64 s[2:3], s[6:7], 3
	s_waitcnt lgkmcnt(0)
	s_ashr_i32 s25, s24, 31
	s_add_u32 s0, s0, s2
	s_addc_u32 s1, s1, s3
	s_add_u32 s2, s22, s2
	s_load_dwordx2 s[0:1], s[0:1], 0x0
	s_addc_u32 s3, s23, s3
	s_load_dwordx2 s[22:23], s[2:3], 0x0
	s_load_dwordx8 s[8:15], s[4:5], 0x38
	v_lshlrev_b32_e32 v2, 1, v0
	s_waitcnt lgkmcnt(0)
	s_add_u32 s0, s22, s0
	s_addc_u32 s1, s23, s1
	s_mul_i32 s2, s0, s25
	s_mul_hi_u32 s3, s0, s24
	s_add_i32 s2, s3, s2
	s_mul_i32 s1, s1, s24
	s_add_i32 s2, s2, s1
	s_mul_i32 s0, s0, s24
	s_lshr_b32 s1, s2, 31
	s_add_u32 s0, s0, s1
	s_addc_u32 s1, s2, 0
	s_lshl_b64 s[0:1], s[0:1], 1
	s_and_b32 s0, s0, -4
	s_add_u32 s15, s18, s0
	s_addc_u32 s19, s19, s1
	s_add_u32 s18, s20, s0
	s_addc_u32 s20, s21, s1
	s_lshr_b32 s0, s24, 31
	s_add_i32 s0, s24, s0
	s_ashr_i32 s21, s0, 1
	s_mul_i32 s12, s21, s12
	s_sub_i32 s0, s14, s24
	s_ashr_i32 s1, s0, 31
	v_cmp_gt_i32_e32 vcc, s12, v0
	s_and_saveexec_b64 s[2:3], vcc
	s_cbranch_execz .LBB15_3
; %bb.1:
	s_load_dwordx2 s[22:23], s[4:5], 0x8
	s_load_dword s27, s[4:5], 0x64
	s_lshl_b64 s[24:25], s[0:1], 2
	s_mul_i32 s9, s6, s9
	s_mul_hi_u32 s26, s6, s8
	s_waitcnt lgkmcnt(0)
	s_add_u32 s22, s22, s24
	s_addc_u32 s23, s23, s25
	s_add_i32 s9, s26, s9
	s_mul_i32 s24, s7, s8
	s_add_i32 s9, s9, s24
	s_mul_i32 s8, s6, s8
	s_lshl_b64 s[8:9], s[8:9], 2
	s_add_u32 s22, s22, s8
	s_addc_u32 s29, s23, s9
	s_abs_i32 s23, s21
	v_cvt_f32_u32_e32 v1, s23
	s_sub_i32 s9, 0, s23
	s_and_b32 s24, s27, 0xffff
	s_lshl_b32 s8, s21, 1
	v_rcp_iflag_f32_e32 v1, v1
	s_ashr_i32 s25, s21, 31
	s_sub_i32 s26, 0, s8
	v_lshlrev_b32_e32 v4, 1, v0
	v_mul_f32_e32 v1, 0x4f7ffffe, v1
	v_cvt_u32_f32_e32 v1, v1
	s_lshl_b32 s27, s24, 1
	s_sub_i32 s28, 0, s21
	v_mov_b32_e32 v5, s19
	v_mul_lo_u32 v3, s9, v1
	v_mul_hi_u32 v3, v1, v3
	v_add_u32_e32 v1, v1, v3
	s_mov_b64 s[8:9], 0
	v_mov_b32_e32 v3, s29
	v_mov_b32_e32 v7, s20
	;; [unrolled: 1-line block ×3, first 2 shown]
.LBB15_2:                               ; =>This Inner Loop Header: Depth=1
	v_sub_u32_e32 v9, 0, v6
	v_max_i32_e32 v9, v6, v9
	v_mul_hi_u32 v10, v9, v1
	v_mul_lo_u32 v11, v10, s23
	v_sub_u32_e32 v9, v9, v11
	v_add_u32_e32 v12, 1, v10
	v_cmp_le_u32_e32 vcc, s23, v9
	v_subrev_u32_e32 v11, s23, v9
	v_cndmask_b32_e32 v10, v10, v12, vcc
	v_cndmask_b32_e32 v9, v9, v11, vcc
	v_ashrrev_i32_e32 v8, 31, v6
	v_add_u32_e32 v11, 1, v10
	v_cmp_le_u32_e32 vcc, s23, v9
	v_xor_b32_e32 v8, s25, v8
	v_cndmask_b32_e32 v9, v10, v11, vcc
	v_xor_b32_e32 v9, v9, v8
	v_sub_u32_e32 v9, v9, v8
	v_mul_lo_u32 v8, v9, s14
	v_mad_u64_u32 v[10:11], s[30:31], s28, v9, v[6:7]
	v_mad_u64_u32 v[12:13], s[30:31], s26, v9, v[4:5]
	v_ashrrev_i32_e32 v9, 31, v8
	v_lshlrev_b64 v[8:9], 2, v[8:9]
	v_ashrrev_i32_e32 v11, 31, v10
	v_add_co_u32_e32 v14, vcc, s22, v8
	v_lshlrev_b64 v[10:11], 2, v[10:11]
	v_addc_co_u32_e32 v15, vcc, v3, v9, vcc
	v_add_co_u32_e32 v8, vcc, s15, v10
	v_addc_co_u32_e32 v9, vcc, v5, v11, vcc
	v_ashrrev_i32_e32 v13, 31, v12
	v_add_co_u32_e32 v10, vcc, s18, v10
	v_lshlrev_b64 v[12:13], 2, v[12:13]
	v_addc_co_u32_e32 v11, vcc, v7, v11, vcc
	global_load_dword v16, v[8:9], off
	global_load_dword v17, v[10:11], off
	v_add_co_u32_e32 v8, vcc, v14, v12
	v_addc_co_u32_e32 v9, vcc, v15, v13, vcc
	global_load_dwordx2 v[10:11], v[8:9], off
	v_add_u32_e32 v6, s24, v6
	v_cmp_le_i32_e32 vcc, s12, v6
	v_add_u32_e32 v4, s27, v4
	s_or_b64 s[8:9], vcc, s[8:9]
	s_waitcnt vmcnt(0)
	v_mul_f32_e32 v12, v17, v11
	v_mul_f32_e32 v13, v16, v11
	v_fma_f32 v12, v16, v10, -v12
	v_fmac_f32_e32 v13, v17, v10
	global_store_dwordx2 v[8:9], v[12:13], off
	s_andn2_b64 exec, exec, s[8:9]
	s_cbranch_execnz .LBB15_2
.LBB15_3:
	s_or_b64 exec, exec, s[2:3]
	s_mul_i32 s2, s21, s13
	v_cmp_gt_i32_e32 vcc, s2, v0
	s_and_saveexec_b64 s[8:9], vcc
	s_cbranch_execz .LBB15_6
; %bb.4:
	s_lshl_b64 s[0:1], s[0:1], 2
	s_add_u32 s3, s16, s0
	s_addc_u32 s8, s17, s1
	s_mul_i32 s0, s6, s11
	s_mul_hi_u32 s1, s6, s10
	s_add_i32 s0, s1, s0
	s_mul_i32 s1, s7, s10
	s_add_i32 s1, s0, s1
	s_mul_i32 s0, s6, s10
	s_lshl_b64 s[0:1], s[0:1], 2
	s_add_u32 s3, s3, s0
	s_addc_u32 s10, s8, s1
	s_abs_i32 s6, s21
	v_cvt_f32_u32_e32 v1, s6
	s_load_dword s0, s[4:5], 0x64
	s_ashr_i32 s5, s21, 31
	s_sub_i32 s9, 0, s21
	v_rcp_iflag_f32_e32 v1, v1
	v_mov_b32_e32 v4, s19
	s_waitcnt lgkmcnt(0)
	s_and_b32 s4, s0, 0xffff
	s_sub_i32 s0, 0, s6
	v_mul_f32_e32 v1, 0x4f7ffffe, v1
	v_cvt_u32_f32_e32 v1, v1
	s_lshl_b32 s8, s4, 1
	v_mov_b32_e32 v5, s20
	v_mul_lo_u32 v3, s0, v1
	v_mul_hi_u32 v3, v1, v3
	s_lshl_b32 s0, s21, 1
	v_add_u32_e32 v1, v1, v3
	s_sub_i32 s7, 0, s0
	s_mov_b64 s[0:1], 0
	v_mov_b32_e32 v3, s10
.LBB15_5:                               ; =>This Inner Loop Header: Depth=1
	v_sub_u32_e32 v7, 0, v0
	v_max_i32_e32 v7, v0, v7
	v_mul_hi_u32 v8, v7, v1
	v_mul_lo_u32 v9, v8, s6
	v_sub_u32_e32 v7, v7, v9
	v_add_u32_e32 v10, 1, v8
	v_cmp_le_u32_e32 vcc, s6, v7
	v_subrev_u32_e32 v9, s6, v7
	v_cndmask_b32_e32 v8, v8, v10, vcc
	v_cndmask_b32_e32 v7, v7, v9, vcc
	v_ashrrev_i32_e32 v6, 31, v0
	v_add_u32_e32 v9, 1, v8
	v_cmp_le_u32_e32 vcc, s6, v7
	v_xor_b32_e32 v6, s5, v6
	v_cndmask_b32_e32 v7, v8, v9, vcc
	v_xor_b32_e32 v7, v7, v6
	v_sub_u32_e32 v7, v7, v6
	v_mul_lo_u32 v6, v7, s14
	v_mad_u64_u32 v[8:9], s[10:11], s9, v7, v[0:1]
	v_mad_u64_u32 v[10:11], s[10:11], s7, v7, v[2:3]
	v_ashrrev_i32_e32 v7, 31, v6
	v_lshlrev_b64 v[6:7], 2, v[6:7]
	v_ashrrev_i32_e32 v9, 31, v8
	v_add_co_u32_e32 v12, vcc, s3, v6
	v_lshlrev_b64 v[8:9], 2, v[8:9]
	v_addc_co_u32_e32 v13, vcc, v3, v7, vcc
	v_add_co_u32_e32 v6, vcc, s15, v8
	v_addc_co_u32_e32 v7, vcc, v4, v9, vcc
	v_ashrrev_i32_e32 v11, 31, v10
	v_add_co_u32_e32 v8, vcc, s18, v8
	v_lshlrev_b64 v[10:11], 2, v[10:11]
	v_addc_co_u32_e32 v9, vcc, v5, v9, vcc
	global_load_dword v14, v[6:7], off
	global_load_dword v15, v[8:9], off
	v_add_co_u32_e32 v6, vcc, v12, v10
	v_addc_co_u32_e32 v7, vcc, v13, v11, vcc
	global_load_dwordx2 v[8:9], v[6:7], off
	v_add_u32_e32 v0, s4, v0
	v_cmp_le_i32_e32 vcc, s2, v0
	v_add_u32_e32 v2, s8, v2
	s_or_b64 s[0:1], vcc, s[0:1]
	s_waitcnt vmcnt(0)
	v_mul_f32_e32 v10, v15, v9
	v_mul_f32_e32 v11, v14, v9
	v_fma_f32 v10, v14, v8, -v10
	v_fmac_f32_e32 v11, v15, v8
	global_store_dwordx2 v[6:7], v[10:11], off
	s_andn2_b64 exec, exec, s[0:1]
	s_cbranch_execnz .LBB15_5
.LBB15_6:
	s_endpgm
	.section	.rodata,"a",@progbits
	.p2align	6, 0x0
	.amdhsa_kernel _ZN4vllm31batched_rotary_embedding_kernelIfLb0ELb1EEEvPKlPT_S4_PKS3_S6_S2_illiii
		.amdhsa_group_segment_fixed_size 0
		.amdhsa_private_segment_fixed_size 0
		.amdhsa_kernarg_size 344
		.amdhsa_user_sgpr_count 6
		.amdhsa_user_sgpr_private_segment_buffer 1
		.amdhsa_user_sgpr_dispatch_ptr 0
		.amdhsa_user_sgpr_queue_ptr 0
		.amdhsa_user_sgpr_kernarg_segment_ptr 1
		.amdhsa_user_sgpr_dispatch_id 0
		.amdhsa_user_sgpr_flat_scratch_init 0
		.amdhsa_user_sgpr_kernarg_preload_length 0
		.amdhsa_user_sgpr_kernarg_preload_offset 0
		.amdhsa_user_sgpr_private_segment_size 0
		.amdhsa_uses_dynamic_stack 0
		.amdhsa_system_sgpr_private_segment_wavefront_offset 0
		.amdhsa_system_sgpr_workgroup_id_x 1
		.amdhsa_system_sgpr_workgroup_id_y 0
		.amdhsa_system_sgpr_workgroup_id_z 0
		.amdhsa_system_sgpr_workgroup_info 0
		.amdhsa_system_vgpr_workitem_id 0
		.amdhsa_next_free_vgpr 18
		.amdhsa_next_free_sgpr 32
		.amdhsa_accum_offset 20
		.amdhsa_reserve_vcc 1
		.amdhsa_reserve_flat_scratch 0
		.amdhsa_float_round_mode_32 0
		.amdhsa_float_round_mode_16_64 0
		.amdhsa_float_denorm_mode_32 3
		.amdhsa_float_denorm_mode_16_64 3
		.amdhsa_dx10_clamp 1
		.amdhsa_ieee_mode 1
		.amdhsa_fp16_overflow 0
		.amdhsa_tg_split 0
		.amdhsa_exception_fp_ieee_invalid_op 0
		.amdhsa_exception_fp_denorm_src 0
		.amdhsa_exception_fp_ieee_div_zero 0
		.amdhsa_exception_fp_ieee_overflow 0
		.amdhsa_exception_fp_ieee_underflow 0
		.amdhsa_exception_fp_ieee_inexact 0
		.amdhsa_exception_int_div_zero 0
	.end_amdhsa_kernel
	.section	.text._ZN4vllm31batched_rotary_embedding_kernelIfLb0ELb1EEEvPKlPT_S4_PKS3_S6_S2_illiii,"axG",@progbits,_ZN4vllm31batched_rotary_embedding_kernelIfLb0ELb1EEEvPKlPT_S4_PKS3_S6_S2_illiii,comdat
.Lfunc_end15:
	.size	_ZN4vllm31batched_rotary_embedding_kernelIfLb0ELb1EEEvPKlPT_S4_PKS3_S6_S2_illiii, .Lfunc_end15-_ZN4vllm31batched_rotary_embedding_kernelIfLb0ELb1EEEvPKlPT_S4_PKS3_S6_S2_illiii
                                        ; -- End function
	.section	.AMDGPU.csdata,"",@progbits
; Kernel info:
; codeLenInByte = 1032
; NumSgprs: 36
; NumVgprs: 18
; NumAgprs: 0
; TotalNumVgprs: 18
; ScratchSize: 0
; MemoryBound: 0
; FloatMode: 240
; IeeeMode: 1
; LDSByteSize: 0 bytes/workgroup (compile time only)
; SGPRBlocks: 4
; VGPRBlocks: 2
; NumSGPRsForWavesPerEU: 36
; NumVGPRsForWavesPerEU: 18
; AccumOffset: 20
; Occupancy: 8
; WaveLimiterHint : 1
; COMPUTE_PGM_RSRC2:SCRATCH_EN: 0
; COMPUTE_PGM_RSRC2:USER_SGPR: 6
; COMPUTE_PGM_RSRC2:TRAP_HANDLER: 0
; COMPUTE_PGM_RSRC2:TGID_X_EN: 1
; COMPUTE_PGM_RSRC2:TGID_Y_EN: 0
; COMPUTE_PGM_RSRC2:TGID_Z_EN: 0
; COMPUTE_PGM_RSRC2:TIDIG_COMP_CNT: 0
; COMPUTE_PGM_RSRC3_GFX90A:ACCUM_OFFSET: 4
; COMPUTE_PGM_RSRC3_GFX90A:TG_SPLIT: 0
	.section	.text._ZN4vllm31batched_rotary_embedding_kernelIfLb0ELb0EEEvPKlPT_S4_PKS3_S6_S2_illiii,"axG",@progbits,_ZN4vllm31batched_rotary_embedding_kernelIfLb0ELb0EEEvPKlPT_S4_PKS3_S6_S2_illiii,comdat
	.protected	_ZN4vllm31batched_rotary_embedding_kernelIfLb0ELb0EEEvPKlPT_S4_PKS3_S6_S2_illiii ; -- Begin function _ZN4vllm31batched_rotary_embedding_kernelIfLb0ELb0EEEvPKlPT_S4_PKS3_S6_S2_illiii
	.globl	_ZN4vllm31batched_rotary_embedding_kernelIfLb0ELb0EEEvPKlPT_S4_PKS3_S6_S2_illiii
	.p2align	8
	.type	_ZN4vllm31batched_rotary_embedding_kernelIfLb0ELb0EEEvPKlPT_S4_PKS3_S6_S2_illiii,@function
_ZN4vllm31batched_rotary_embedding_kernelIfLb0ELb0EEEvPKlPT_S4_PKS3_S6_S2_illiii: ; @_ZN4vllm31batched_rotary_embedding_kernelIfLb0ELb0EEEvPKlPT_S4_PKS3_S6_S2_illiii
; %bb.0:
	s_load_dword s24, s[4:5], 0x30
	s_load_dwordx2 s[0:1], s[4:5], 0x0
	s_load_dwordx8 s[16:23], s[4:5], 0x10
	s_ashr_i32 s7, s6, 31
	s_lshl_b64 s[2:3], s[6:7], 3
	s_waitcnt lgkmcnt(0)
	s_ashr_i32 s25, s24, 31
	s_add_u32 s0, s0, s2
	s_addc_u32 s1, s1, s3
	s_add_u32 s2, s22, s2
	s_load_dwordx2 s[0:1], s[0:1], 0x0
	s_addc_u32 s3, s23, s3
	s_load_dwordx2 s[22:23], s[2:3], 0x0
	s_load_dwordx8 s[8:15], s[4:5], 0x38
	v_lshlrev_b32_e32 v2, 1, v0
	s_waitcnt lgkmcnt(0)
	s_add_u32 s0, s22, s0
	s_addc_u32 s1, s23, s1
	s_mul_i32 s2, s0, s25
	s_mul_hi_u32 s3, s0, s24
	s_add_i32 s2, s3, s2
	s_mul_i32 s1, s1, s24
	s_add_i32 s2, s2, s1
	s_mul_i32 s0, s0, s24
	s_lshr_b32 s1, s2, 31
	s_add_u32 s0, s0, s1
	s_addc_u32 s1, s2, 0
	s_lshl_b64 s[0:1], s[0:1], 1
	s_and_b32 s0, s0, -4
	s_add_u32 s15, s18, s0
	s_addc_u32 s19, s19, s1
	s_add_u32 s18, s20, s0
	s_addc_u32 s20, s21, s1
	s_lshr_b32 s0, s24, 31
	s_add_i32 s24, s24, s0
	s_ashr_i32 s21, s24, 1
	s_mul_i32 s12, s21, s12
	v_cmp_gt_i32_e32 vcc, s12, v0
	s_and_saveexec_b64 s[0:1], vcc
	s_cbranch_execz .LBB16_3
; %bb.1:
	s_mul_i32 s2, s6, s9
	s_mul_hi_u32 s3, s6, s8
	s_add_i32 s9, s3, s2
	s_load_dwordx2 s[2:3], s[4:5], 0x8
	s_mul_i32 s22, s7, s8
	s_add_i32 s9, s9, s22
	s_load_dword s22, s[4:5], 0x64
	s_mul_i32 s8, s6, s8
	s_lshl_b64 s[8:9], s[8:9], 2
	s_waitcnt lgkmcnt(0)
	s_add_u32 s8, s2, s8
	s_addc_u32 s27, s3, s9
	s_abs_i32 s9, s21
	v_cvt_f32_u32_e32 v1, s9
	s_sub_i32 s3, 0, s9
	s_and_b32 s22, s22, 0xffff
	s_lshl_b32 s2, s21, 1
	v_rcp_iflag_f32_e32 v1, v1
	s_ashr_i32 s23, s21, 31
	s_sub_i32 s24, 0, s2
	v_lshlrev_b32_e32 v4, 1, v0
	v_mul_f32_e32 v1, 0x4f7ffffe, v1
	v_cvt_u32_f32_e32 v1, v1
	s_lshl_b32 s25, s22, 1
	s_sub_i32 s26, 0, s21
	v_mov_b32_e32 v5, s19
	v_mul_lo_u32 v3, s3, v1
	v_mul_hi_u32 v3, v1, v3
	v_add_u32_e32 v1, v1, v3
	s_mov_b64 s[2:3], 0
	v_mov_b32_e32 v3, s27
	v_mov_b32_e32 v7, s20
	;; [unrolled: 1-line block ×3, first 2 shown]
.LBB16_2:                               ; =>This Inner Loop Header: Depth=1
	v_sub_u32_e32 v9, 0, v6
	v_max_i32_e32 v9, v6, v9
	v_mul_hi_u32 v10, v9, v1
	v_mul_lo_u32 v11, v10, s9
	v_sub_u32_e32 v9, v9, v11
	v_add_u32_e32 v12, 1, v10
	v_cmp_le_u32_e32 vcc, s9, v9
	v_subrev_u32_e32 v11, s9, v9
	v_cndmask_b32_e32 v10, v10, v12, vcc
	v_cndmask_b32_e32 v9, v9, v11, vcc
	v_ashrrev_i32_e32 v8, 31, v6
	v_add_u32_e32 v11, 1, v10
	v_cmp_le_u32_e32 vcc, s9, v9
	v_xor_b32_e32 v8, s23, v8
	v_cndmask_b32_e32 v9, v10, v11, vcc
	v_xor_b32_e32 v9, v9, v8
	v_sub_u32_e32 v9, v9, v8
	v_mul_lo_u32 v8, v9, s14
	v_mad_u64_u32 v[10:11], s[28:29], s26, v9, v[6:7]
	v_mad_u64_u32 v[12:13], s[28:29], s24, v9, v[4:5]
	v_ashrrev_i32_e32 v9, 31, v8
	v_lshlrev_b64 v[8:9], 2, v[8:9]
	v_ashrrev_i32_e32 v11, 31, v10
	v_add_co_u32_e32 v14, vcc, s8, v8
	v_lshlrev_b64 v[10:11], 2, v[10:11]
	v_addc_co_u32_e32 v15, vcc, v3, v9, vcc
	v_add_co_u32_e32 v8, vcc, s15, v10
	v_addc_co_u32_e32 v9, vcc, v5, v11, vcc
	v_ashrrev_i32_e32 v13, 31, v12
	v_add_co_u32_e32 v10, vcc, s18, v10
	v_lshlrev_b64 v[12:13], 2, v[12:13]
	v_addc_co_u32_e32 v11, vcc, v7, v11, vcc
	global_load_dword v16, v[8:9], off
	global_load_dword v17, v[10:11], off
	v_add_co_u32_e32 v8, vcc, v14, v12
	v_addc_co_u32_e32 v9, vcc, v15, v13, vcc
	global_load_dwordx2 v[10:11], v[8:9], off
	v_add_u32_e32 v6, s22, v6
	v_cmp_le_i32_e32 vcc, s12, v6
	v_add_u32_e32 v4, s25, v4
	s_or_b64 s[2:3], vcc, s[2:3]
	s_waitcnt vmcnt(0)
	v_mul_f32_e32 v12, v17, v11
	v_mul_f32_e32 v13, v16, v11
	v_fma_f32 v12, v16, v10, -v12
	v_fmac_f32_e32 v13, v17, v10
	global_store_dwordx2 v[8:9], v[12:13], off
	s_andn2_b64 exec, exec, s[2:3]
	s_cbranch_execnz .LBB16_2
.LBB16_3:
	s_or_b64 exec, exec, s[0:1]
	s_mul_i32 s2, s21, s13
	v_cmp_gt_i32_e32 vcc, s2, v0
	s_and_saveexec_b64 s[0:1], vcc
	s_cbranch_execz .LBB16_6
; %bb.4:
	s_mul_i32 s0, s6, s11
	s_mul_hi_u32 s1, s6, s10
	s_add_i32 s0, s1, s0
	s_mul_i32 s1, s7, s10
	s_add_i32 s1, s0, s1
	s_mul_i32 s0, s6, s10
	s_lshl_b64 s[0:1], s[0:1], 2
	s_add_u32 s3, s16, s0
	s_addc_u32 s10, s17, s1
	s_abs_i32 s6, s21
	v_cvt_f32_u32_e32 v1, s6
	s_load_dword s0, s[4:5], 0x64
	s_sub_i32 s1, 0, s6
	s_ashr_i32 s5, s21, 31
	v_rcp_iflag_f32_e32 v1, v1
	s_sub_i32 s9, 0, s21
	s_waitcnt lgkmcnt(0)
	s_and_b32 s4, s0, 0xffff
	s_lshl_b32 s0, s21, 1
	v_mul_f32_e32 v1, 0x4f7ffffe, v1
	v_cvt_u32_f32_e32 v1, v1
	s_sub_i32 s7, 0, s0
	s_lshl_b32 s8, s4, 1
	v_mov_b32_e32 v4, s19
	v_mul_lo_u32 v3, s1, v1
	v_mul_hi_u32 v3, v1, v3
	v_add_u32_e32 v1, v1, v3
	s_mov_b64 s[0:1], 0
	v_mov_b32_e32 v3, s10
	v_mov_b32_e32 v5, s20
.LBB16_5:                               ; =>This Inner Loop Header: Depth=1
	v_sub_u32_e32 v7, 0, v0
	v_max_i32_e32 v7, v0, v7
	v_mul_hi_u32 v8, v7, v1
	v_mul_lo_u32 v9, v8, s6
	v_sub_u32_e32 v7, v7, v9
	v_add_u32_e32 v10, 1, v8
	v_cmp_le_u32_e32 vcc, s6, v7
	v_subrev_u32_e32 v9, s6, v7
	v_cndmask_b32_e32 v8, v8, v10, vcc
	v_cndmask_b32_e32 v7, v7, v9, vcc
	v_ashrrev_i32_e32 v6, 31, v0
	v_add_u32_e32 v9, 1, v8
	v_cmp_le_u32_e32 vcc, s6, v7
	v_xor_b32_e32 v6, s5, v6
	v_cndmask_b32_e32 v7, v8, v9, vcc
	v_xor_b32_e32 v7, v7, v6
	v_sub_u32_e32 v7, v7, v6
	v_mul_lo_u32 v6, v7, s14
	v_mad_u64_u32 v[8:9], s[10:11], s9, v7, v[0:1]
	v_mad_u64_u32 v[10:11], s[10:11], s7, v7, v[2:3]
	v_ashrrev_i32_e32 v7, 31, v6
	v_lshlrev_b64 v[6:7], 2, v[6:7]
	v_ashrrev_i32_e32 v9, 31, v8
	v_add_co_u32_e32 v12, vcc, s3, v6
	v_lshlrev_b64 v[8:9], 2, v[8:9]
	v_addc_co_u32_e32 v13, vcc, v3, v7, vcc
	v_add_co_u32_e32 v6, vcc, s15, v8
	v_addc_co_u32_e32 v7, vcc, v4, v9, vcc
	v_ashrrev_i32_e32 v11, 31, v10
	v_add_co_u32_e32 v8, vcc, s18, v8
	v_lshlrev_b64 v[10:11], 2, v[10:11]
	v_addc_co_u32_e32 v9, vcc, v5, v9, vcc
	global_load_dword v14, v[6:7], off
	global_load_dword v15, v[8:9], off
	v_add_co_u32_e32 v6, vcc, v12, v10
	v_addc_co_u32_e32 v7, vcc, v13, v11, vcc
	global_load_dwordx2 v[8:9], v[6:7], off
	v_add_u32_e32 v0, s4, v0
	v_cmp_le_i32_e32 vcc, s2, v0
	v_add_u32_e32 v2, s8, v2
	s_or_b64 s[0:1], vcc, s[0:1]
	s_waitcnt vmcnt(0)
	v_mul_f32_e32 v10, v15, v9
	v_mul_f32_e32 v11, v14, v9
	v_fma_f32 v10, v14, v8, -v10
	v_fmac_f32_e32 v11, v15, v8
	global_store_dwordx2 v[6:7], v[10:11], off
	s_andn2_b64 exec, exec, s[0:1]
	s_cbranch_execnz .LBB16_5
.LBB16_6:
	s_endpgm
	.section	.rodata,"a",@progbits
	.p2align	6, 0x0
	.amdhsa_kernel _ZN4vllm31batched_rotary_embedding_kernelIfLb0ELb0EEEvPKlPT_S4_PKS3_S6_S2_illiii
		.amdhsa_group_segment_fixed_size 0
		.amdhsa_private_segment_fixed_size 0
		.amdhsa_kernarg_size 344
		.amdhsa_user_sgpr_count 6
		.amdhsa_user_sgpr_private_segment_buffer 1
		.amdhsa_user_sgpr_dispatch_ptr 0
		.amdhsa_user_sgpr_queue_ptr 0
		.amdhsa_user_sgpr_kernarg_segment_ptr 1
		.amdhsa_user_sgpr_dispatch_id 0
		.amdhsa_user_sgpr_flat_scratch_init 0
		.amdhsa_user_sgpr_kernarg_preload_length 0
		.amdhsa_user_sgpr_kernarg_preload_offset 0
		.amdhsa_user_sgpr_private_segment_size 0
		.amdhsa_uses_dynamic_stack 0
		.amdhsa_system_sgpr_private_segment_wavefront_offset 0
		.amdhsa_system_sgpr_workgroup_id_x 1
		.amdhsa_system_sgpr_workgroup_id_y 0
		.amdhsa_system_sgpr_workgroup_id_z 0
		.amdhsa_system_sgpr_workgroup_info 0
		.amdhsa_system_vgpr_workitem_id 0
		.amdhsa_next_free_vgpr 18
		.amdhsa_next_free_sgpr 30
		.amdhsa_accum_offset 20
		.amdhsa_reserve_vcc 1
		.amdhsa_reserve_flat_scratch 0
		.amdhsa_float_round_mode_32 0
		.amdhsa_float_round_mode_16_64 0
		.amdhsa_float_denorm_mode_32 3
		.amdhsa_float_denorm_mode_16_64 3
		.amdhsa_dx10_clamp 1
		.amdhsa_ieee_mode 1
		.amdhsa_fp16_overflow 0
		.amdhsa_tg_split 0
		.amdhsa_exception_fp_ieee_invalid_op 0
		.amdhsa_exception_fp_denorm_src 0
		.amdhsa_exception_fp_ieee_div_zero 0
		.amdhsa_exception_fp_ieee_overflow 0
		.amdhsa_exception_fp_ieee_underflow 0
		.amdhsa_exception_fp_ieee_inexact 0
		.amdhsa_exception_int_div_zero 0
	.end_amdhsa_kernel
	.section	.text._ZN4vllm31batched_rotary_embedding_kernelIfLb0ELb0EEEvPKlPT_S4_PKS3_S6_S2_illiii,"axG",@progbits,_ZN4vllm31batched_rotary_embedding_kernelIfLb0ELb0EEEvPKlPT_S4_PKS3_S6_S2_illiii,comdat
.Lfunc_end16:
	.size	_ZN4vllm31batched_rotary_embedding_kernelIfLb0ELb0EEEvPKlPT_S4_PKS3_S6_S2_illiii, .Lfunc_end16-_ZN4vllm31batched_rotary_embedding_kernelIfLb0ELb0EEEvPKlPT_S4_PKS3_S6_S2_illiii
                                        ; -- End function
	.section	.AMDGPU.csdata,"",@progbits
; Kernel info:
; codeLenInByte = 1000
; NumSgprs: 34
; NumVgprs: 18
; NumAgprs: 0
; TotalNumVgprs: 18
; ScratchSize: 0
; MemoryBound: 0
; FloatMode: 240
; IeeeMode: 1
; LDSByteSize: 0 bytes/workgroup (compile time only)
; SGPRBlocks: 4
; VGPRBlocks: 2
; NumSGPRsForWavesPerEU: 34
; NumVGPRsForWavesPerEU: 18
; AccumOffset: 20
; Occupancy: 8
; WaveLimiterHint : 1
; COMPUTE_PGM_RSRC2:SCRATCH_EN: 0
; COMPUTE_PGM_RSRC2:USER_SGPR: 6
; COMPUTE_PGM_RSRC2:TRAP_HANDLER: 0
; COMPUTE_PGM_RSRC2:TGID_X_EN: 1
; COMPUTE_PGM_RSRC2:TGID_Y_EN: 0
; COMPUTE_PGM_RSRC2:TGID_Z_EN: 0
; COMPUTE_PGM_RSRC2:TIDIG_COMP_CNT: 0
; COMPUTE_PGM_RSRC3_GFX90A:ACCUM_OFFSET: 4
; COMPUTE_PGM_RSRC3_GFX90A:TG_SPLIT: 0
	.section	.text._ZN4vllm31batched_rotary_embedding_kernelIN3c104HalfELb1ELb1EEEvPKlPT_S6_PKS5_S8_S4_illiii,"axG",@progbits,_ZN4vllm31batched_rotary_embedding_kernelIN3c104HalfELb1ELb1EEEvPKlPT_S6_PKS5_S8_S4_illiii,comdat
	.protected	_ZN4vllm31batched_rotary_embedding_kernelIN3c104HalfELb1ELb1EEEvPKlPT_S6_PKS5_S8_S4_illiii ; -- Begin function _ZN4vllm31batched_rotary_embedding_kernelIN3c104HalfELb1ELb1EEEvPKlPT_S6_PKS5_S8_S4_illiii
	.globl	_ZN4vllm31batched_rotary_embedding_kernelIN3c104HalfELb1ELb1EEEvPKlPT_S6_PKS5_S8_S4_illiii
	.p2align	8
	.type	_ZN4vllm31batched_rotary_embedding_kernelIN3c104HalfELb1ELb1EEEvPKlPT_S6_PKS5_S8_S4_illiii,@function
_ZN4vllm31batched_rotary_embedding_kernelIN3c104HalfELb1ELb1EEEvPKlPT_S6_PKS5_S8_S4_illiii: ; @_ZN4vllm31batched_rotary_embedding_kernelIN3c104HalfELb1ELb1EEEvPKlPT_S6_PKS5_S8_S4_illiii
; %bb.0:
	s_load_dword s25, s[4:5], 0x30
	s_load_dwordx2 s[0:1], s[4:5], 0x0
	s_load_dwordx8 s[16:23], s[4:5], 0x10
	s_ashr_i32 s7, s6, 31
	s_lshl_b64 s[2:3], s[6:7], 3
	s_waitcnt lgkmcnt(0)
	s_ashr_i32 s24, s25, 31
	s_add_u32 s0, s0, s2
	s_addc_u32 s1, s1, s3
	s_add_u32 s2, s22, s2
	s_load_dwordx2 s[0:1], s[0:1], 0x0
	s_addc_u32 s3, s23, s3
	s_load_dwordx2 s[22:23], s[2:3], 0x0
	s_load_dwordx8 s[8:15], s[4:5], 0x38
	s_waitcnt lgkmcnt(0)
	s_add_u32 s0, s22, s0
	s_addc_u32 s1, s23, s1
	s_mul_i32 s2, s0, s24
	s_mul_hi_u32 s3, s0, s25
	s_add_i32 s2, s3, s2
	s_mul_i32 s1, s1, s25
	s_add_i32 s2, s2, s1
	s_mul_i32 s0, s0, s25
	s_lshr_b32 s1, s2, 31
	s_add_u32 s0, s0, s1
	s_addc_u32 s1, s2, 0
	s_and_b32 s0, s0, -2
	s_add_u32 s15, s18, s0
	s_addc_u32 s23, s19, s1
	s_add_u32 s22, s20, s0
	s_addc_u32 s24, s21, s1
	s_lshr_b32 s0, s25, 31
	s_add_i32 s0, s25, s0
	s_ashr_i32 s0, s0, 1
	s_mul_i32 s12, s0, s12
	s_sub_i32 s2, s14, s25
	s_ashr_i32 s3, s2, 31
	v_cmp_gt_i32_e32 vcc, s12, v0
	s_and_saveexec_b64 s[18:19], vcc
	s_cbranch_execz .LBB17_3
; %bb.1:
	s_load_dwordx2 s[20:21], s[4:5], 0x8
	s_load_dword s28, s[4:5], 0x64
	s_lshl_b64 s[26:27], s[2:3], 1
	s_mul_i32 s1, s6, s9
	s_mul_hi_u32 s9, s6, s8
	s_waitcnt lgkmcnt(0)
	s_add_u32 s20, s20, s26
	s_addc_u32 s21, s21, s27
	s_add_i32 s1, s9, s1
	s_mul_i32 s9, s7, s8
	s_add_i32 s9, s1, s9
	s_mul_i32 s8, s6, s8
	s_lshl_b64 s[8:9], s[8:9], 1
	s_add_u32 s25, s20, s8
	s_addc_u32 s20, s21, s9
	s_abs_i32 s26, s0
	v_cvt_f32_u32_e32 v1, s26
	s_sub_i32 s21, 0, s26
	s_ashr_i32 s1, s0, 31
	v_mov_b32_e32 v3, s20
	v_rcp_iflag_f32_e32 v1, v1
	s_mov_b64 s[8:9], 0
	s_and_b32 s27, s28, 0xffff
	s_sub_i32 s28, 0, s0
	v_mul_f32_e32 v1, 0x4f7ffffe, v1
	v_cvt_u32_f32_e32 v1, v1
	v_mov_b32_e32 v4, s23
	v_mov_b32_e32 v5, s24
	v_mul_lo_u32 v2, s21, v1
	v_mul_hi_u32 v2, v1, v2
	s_lshl_b64 s[20:21], s[0:1], 1
	v_add_u32_e32 v1, v1, v2
	v_mov_b32_e32 v6, s21
	v_mov_b32_e32 v2, v0
.LBB17_2:                               ; =>This Inner Loop Header: Depth=1
	v_sub_u32_e32 v8, 0, v2
	v_max_i32_e32 v8, v2, v8
	v_mul_hi_u32 v9, v8, v1
	v_mul_lo_u32 v10, v9, s26
	v_sub_u32_e32 v8, v8, v10
	v_add_u32_e32 v11, 1, v9
	v_cmp_le_u32_e32 vcc, s26, v8
	v_subrev_u32_e32 v10, s26, v8
	v_cndmask_b32_e32 v9, v9, v11, vcc
	v_cndmask_b32_e32 v8, v8, v10, vcc
	v_ashrrev_i32_e32 v7, 31, v2
	v_add_u32_e32 v10, 1, v9
	v_cmp_le_u32_e32 vcc, s26, v8
	v_xor_b32_e32 v7, s1, v7
	v_cndmask_b32_e32 v8, v9, v10, vcc
	v_xor_b32_e32 v8, v8, v7
	v_sub_u32_e32 v7, v8, v7
	v_mul_lo_u32 v8, v7, s14
	v_ashrrev_i32_e32 v9, 31, v8
	v_mad_u64_u32 v[10:11], s[30:31], s28, v7, v[2:3]
	v_lshlrev_b64 v[8:9], 1, v[8:9]
	v_ashrrev_i32_e32 v11, 31, v10
	v_add_co_u32_e32 v7, vcc, s25, v8
	v_lshlrev_b64 v[10:11], 1, v[10:11]
	v_addc_co_u32_e32 v14, vcc, v3, v9, vcc
	v_add_co_u32_e32 v8, vcc, s15, v10
	v_addc_co_u32_e32 v9, vcc, v4, v11, vcc
	v_add_co_u32_e32 v12, vcc, s22, v10
	v_addc_co_u32_e32 v13, vcc, v5, v11, vcc
	global_load_ushort v15, v[8:9], off
	global_load_ushort v16, v[12:13], off
	v_add_co_u32_e32 v8, vcc, v7, v10
	v_addc_co_u32_e32 v9, vcc, v14, v11, vcc
	v_add_co_u32_e32 v10, vcc, s20, v8
	v_addc_co_u32_e32 v11, vcc, v9, v6, vcc
	global_load_ushort v7, v[8:9], off
	global_load_ushort v12, v[10:11], off
	v_add_u32_e32 v2, s27, v2
	v_cmp_le_i32_e32 vcc, s12, v2
	s_or_b64 s[8:9], vcc, s[8:9]
	s_waitcnt vmcnt(0)
	v_mul_f16_e32 v13, v16, v12
	v_mul_f16_e32 v12, v15, v12
	v_fma_f16 v13, v15, v7, -v13
	v_fma_f16 v7, v16, v7, v12
	global_store_short v[8:9], v13, off
	global_store_short v[10:11], v7, off
	s_andn2_b64 exec, exec, s[8:9]
	s_cbranch_execnz .LBB17_2
.LBB17_3:
	s_or_b64 exec, exec, s[18:19]
	s_mul_i32 s8, s0, s13
	v_cmp_gt_i32_e32 vcc, s8, v0
	s_and_saveexec_b64 s[12:13], vcc
	s_cbranch_execz .LBB17_6
; %bb.4:
	s_lshl_b64 s[2:3], s[2:3], 1
	s_add_u32 s1, s16, s2
	s_addc_u32 s9, s17, s3
	s_mul_i32 s2, s6, s11
	s_mul_hi_u32 s3, s6, s10
	s_add_i32 s2, s3, s2
	s_mul_i32 s3, s7, s10
	s_add_i32 s3, s2, s3
	s_mul_i32 s2, s6, s10
	s_lshl_b64 s[2:3], s[2:3], 1
	s_add_u32 s6, s1, s2
	s_addc_u32 s11, s9, s3
	s_abs_i32 s7, s0
	v_cvt_f32_u32_e32 v1, s7
	s_load_dword s1, s[4:5], 0x64
	s_sub_i32 s2, 0, s7
	s_sub_i32 s10, 0, s0
	v_rcp_iflag_f32_e32 v1, v1
	v_mov_b32_e32 v3, s23
	s_waitcnt lgkmcnt(0)
	s_and_b32 s9, s1, 0xffff
	s_ashr_i32 s1, s0, 31
	v_mul_f32_e32 v1, 0x4f7ffffe, v1
	v_cvt_u32_f32_e32 v1, v1
	s_lshl_b64 s[4:5], s[0:1], 1
	v_mov_b32_e32 v4, s24
	v_mov_b32_e32 v5, s5
	v_mul_lo_u32 v2, s2, v1
	v_mul_hi_u32 v2, v1, v2
	v_add_u32_e32 v1, v1, v2
	s_mov_b64 s[2:3], 0
	v_mov_b32_e32 v2, s11
.LBB17_5:                               ; =>This Inner Loop Header: Depth=1
	v_sub_u32_e32 v7, 0, v0
	v_max_i32_e32 v7, v0, v7
	v_mul_hi_u32 v8, v7, v1
	v_mul_lo_u32 v9, v8, s7
	v_sub_u32_e32 v7, v7, v9
	v_add_u32_e32 v10, 1, v8
	v_cmp_le_u32_e32 vcc, s7, v7
	v_subrev_u32_e32 v9, s7, v7
	v_cndmask_b32_e32 v8, v8, v10, vcc
	v_cndmask_b32_e32 v7, v7, v9, vcc
	v_ashrrev_i32_e32 v6, 31, v0
	v_add_u32_e32 v9, 1, v8
	v_cmp_le_u32_e32 vcc, s7, v7
	v_xor_b32_e32 v6, s1, v6
	v_cndmask_b32_e32 v7, v8, v9, vcc
	v_xor_b32_e32 v7, v7, v6
	v_sub_u32_e32 v7, v7, v6
	v_mul_lo_u32 v6, v7, s14
	v_mad_u64_u32 v[8:9], s[12:13], s10, v7, v[0:1]
	v_ashrrev_i32_e32 v7, 31, v6
	v_lshlrev_b64 v[6:7], 1, v[6:7]
	v_ashrrev_i32_e32 v9, 31, v8
	v_add_co_u32_e32 v12, vcc, s6, v6
	v_lshlrev_b64 v[8:9], 1, v[8:9]
	v_addc_co_u32_e32 v13, vcc, v2, v7, vcc
	v_add_co_u32_e32 v6, vcc, s15, v8
	v_addc_co_u32_e32 v7, vcc, v3, v9, vcc
	v_add_co_u32_e32 v10, vcc, s22, v8
	v_addc_co_u32_e32 v11, vcc, v4, v9, vcc
	global_load_ushort v14, v[6:7], off
	global_load_ushort v15, v[10:11], off
	v_add_co_u32_e32 v6, vcc, v12, v8
	v_addc_co_u32_e32 v7, vcc, v13, v9, vcc
	v_add_co_u32_e32 v8, vcc, s4, v6
	v_addc_co_u32_e32 v9, vcc, v7, v5, vcc
	global_load_ushort v10, v[6:7], off
	global_load_ushort v11, v[8:9], off
	v_add_u32_e32 v0, s9, v0
	v_cmp_le_i32_e32 vcc, s8, v0
	s_or_b64 s[2:3], vcc, s[2:3]
	s_waitcnt vmcnt(0)
	v_mul_f16_e32 v12, v15, v11
	v_mul_f16_e32 v11, v14, v11
	v_fma_f16 v12, v14, v10, -v12
	v_fma_f16 v10, v15, v10, v11
	global_store_short v[6:7], v12, off
	global_store_short v[8:9], v10, off
	s_andn2_b64 exec, exec, s[2:3]
	s_cbranch_execnz .LBB17_5
.LBB17_6:
	s_endpgm
	.section	.rodata,"a",@progbits
	.p2align	6, 0x0
	.amdhsa_kernel _ZN4vllm31batched_rotary_embedding_kernelIN3c104HalfELb1ELb1EEEvPKlPT_S6_PKS5_S8_S4_illiii
		.amdhsa_group_segment_fixed_size 0
		.amdhsa_private_segment_fixed_size 0
		.amdhsa_kernarg_size 344
		.amdhsa_user_sgpr_count 6
		.amdhsa_user_sgpr_private_segment_buffer 1
		.amdhsa_user_sgpr_dispatch_ptr 0
		.amdhsa_user_sgpr_queue_ptr 0
		.amdhsa_user_sgpr_kernarg_segment_ptr 1
		.amdhsa_user_sgpr_dispatch_id 0
		.amdhsa_user_sgpr_flat_scratch_init 0
		.amdhsa_user_sgpr_kernarg_preload_length 0
		.amdhsa_user_sgpr_kernarg_preload_offset 0
		.amdhsa_user_sgpr_private_segment_size 0
		.amdhsa_uses_dynamic_stack 0
		.amdhsa_system_sgpr_private_segment_wavefront_offset 0
		.amdhsa_system_sgpr_workgroup_id_x 1
		.amdhsa_system_sgpr_workgroup_id_y 0
		.amdhsa_system_sgpr_workgroup_id_z 0
		.amdhsa_system_sgpr_workgroup_info 0
		.amdhsa_system_vgpr_workitem_id 0
		.amdhsa_next_free_vgpr 17
		.amdhsa_next_free_sgpr 32
		.amdhsa_accum_offset 20
		.amdhsa_reserve_vcc 1
		.amdhsa_reserve_flat_scratch 0
		.amdhsa_float_round_mode_32 0
		.amdhsa_float_round_mode_16_64 0
		.amdhsa_float_denorm_mode_32 3
		.amdhsa_float_denorm_mode_16_64 3
		.amdhsa_dx10_clamp 1
		.amdhsa_ieee_mode 1
		.amdhsa_fp16_overflow 0
		.amdhsa_tg_split 0
		.amdhsa_exception_fp_ieee_invalid_op 0
		.amdhsa_exception_fp_denorm_src 0
		.amdhsa_exception_fp_ieee_div_zero 0
		.amdhsa_exception_fp_ieee_overflow 0
		.amdhsa_exception_fp_ieee_underflow 0
		.amdhsa_exception_fp_ieee_inexact 0
		.amdhsa_exception_int_div_zero 0
	.end_amdhsa_kernel
	.section	.text._ZN4vllm31batched_rotary_embedding_kernelIN3c104HalfELb1ELb1EEEvPKlPT_S6_PKS5_S8_S4_illiii,"axG",@progbits,_ZN4vllm31batched_rotary_embedding_kernelIN3c104HalfELb1ELb1EEEvPKlPT_S6_PKS5_S8_S4_illiii,comdat
.Lfunc_end17:
	.size	_ZN4vllm31batched_rotary_embedding_kernelIN3c104HalfELb1ELb1EEEvPKlPT_S6_PKS5_S8_S4_illiii, .Lfunc_end17-_ZN4vllm31batched_rotary_embedding_kernelIN3c104HalfELb1ELb1EEEvPKlPT_S6_PKS5_S8_S4_illiii
                                        ; -- End function
	.section	.AMDGPU.csdata,"",@progbits
; Kernel info:
; codeLenInByte = 1020
; NumSgprs: 36
; NumVgprs: 17
; NumAgprs: 0
; TotalNumVgprs: 17
; ScratchSize: 0
; MemoryBound: 0
; FloatMode: 240
; IeeeMode: 1
; LDSByteSize: 0 bytes/workgroup (compile time only)
; SGPRBlocks: 4
; VGPRBlocks: 2
; NumSGPRsForWavesPerEU: 36
; NumVGPRsForWavesPerEU: 17
; AccumOffset: 20
; Occupancy: 8
; WaveLimiterHint : 1
; COMPUTE_PGM_RSRC2:SCRATCH_EN: 0
; COMPUTE_PGM_RSRC2:USER_SGPR: 6
; COMPUTE_PGM_RSRC2:TRAP_HANDLER: 0
; COMPUTE_PGM_RSRC2:TGID_X_EN: 1
; COMPUTE_PGM_RSRC2:TGID_Y_EN: 0
; COMPUTE_PGM_RSRC2:TGID_Z_EN: 0
; COMPUTE_PGM_RSRC2:TIDIG_COMP_CNT: 0
; COMPUTE_PGM_RSRC3_GFX90A:ACCUM_OFFSET: 4
; COMPUTE_PGM_RSRC3_GFX90A:TG_SPLIT: 0
	.section	.text._ZN4vllm31batched_rotary_embedding_kernelIN3c104HalfELb1ELb0EEEvPKlPT_S6_PKS5_S8_S4_illiii,"axG",@progbits,_ZN4vllm31batched_rotary_embedding_kernelIN3c104HalfELb1ELb0EEEvPKlPT_S6_PKS5_S8_S4_illiii,comdat
	.protected	_ZN4vllm31batched_rotary_embedding_kernelIN3c104HalfELb1ELb0EEEvPKlPT_S6_PKS5_S8_S4_illiii ; -- Begin function _ZN4vllm31batched_rotary_embedding_kernelIN3c104HalfELb1ELb0EEEvPKlPT_S6_PKS5_S8_S4_illiii
	.globl	_ZN4vllm31batched_rotary_embedding_kernelIN3c104HalfELb1ELb0EEEvPKlPT_S6_PKS5_S8_S4_illiii
	.p2align	8
	.type	_ZN4vllm31batched_rotary_embedding_kernelIN3c104HalfELb1ELb0EEEvPKlPT_S6_PKS5_S8_S4_illiii,@function
_ZN4vllm31batched_rotary_embedding_kernelIN3c104HalfELb1ELb0EEEvPKlPT_S6_PKS5_S8_S4_illiii: ; @_ZN4vllm31batched_rotary_embedding_kernelIN3c104HalfELb1ELb0EEEvPKlPT_S6_PKS5_S8_S4_illiii
; %bb.0:
	s_load_dword s24, s[4:5], 0x30
	s_load_dwordx2 s[0:1], s[4:5], 0x0
	s_load_dwordx8 s[16:23], s[4:5], 0x10
	s_ashr_i32 s7, s6, 31
	s_lshl_b64 s[2:3], s[6:7], 3
	s_waitcnt lgkmcnt(0)
	s_ashr_i32 s25, s24, 31
	s_add_u32 s0, s0, s2
	s_addc_u32 s1, s1, s3
	s_add_u32 s2, s22, s2
	s_load_dwordx2 s[0:1], s[0:1], 0x0
	s_addc_u32 s3, s23, s3
	s_load_dwordx2 s[22:23], s[2:3], 0x0
	s_load_dwordx8 s[8:15], s[4:5], 0x38
	s_waitcnt lgkmcnt(0)
	s_add_u32 s0, s22, s0
	s_addc_u32 s1, s23, s1
	s_mul_i32 s2, s0, s25
	s_mul_hi_u32 s3, s0, s24
	s_add_i32 s2, s3, s2
	s_mul_i32 s1, s1, s24
	s_add_i32 s2, s2, s1
	s_mul_i32 s0, s0, s24
	s_lshr_b32 s1, s2, 31
	s_add_u32 s0, s0, s1
	s_addc_u32 s1, s2, 0
	s_and_b32 s0, s0, -2
	s_add_u32 s15, s18, s0
	s_addc_u32 s22, s19, s1
	s_add_u32 s20, s20, s0
	s_addc_u32 s21, s21, s1
	s_lshr_b32 s0, s24, 31
	s_add_i32 s24, s24, s0
	s_ashr_i32 s0, s24, 1
	s_mul_i32 s12, s0, s12
	v_cmp_gt_i32_e32 vcc, s12, v0
	s_and_saveexec_b64 s[2:3], vcc
	s_cbranch_execz .LBB18_3
; %bb.1:
	s_load_dwordx2 s[18:19], s[4:5], 0x8
	s_mul_i32 s1, s6, s9
	s_mul_hi_u32 s9, s6, s8
	s_add_i32 s1, s9, s1
	s_mul_i32 s9, s7, s8
	s_add_i32 s9, s1, s9
	s_load_dword s1, s[4:5], 0x64
	s_mul_i32 s8, s6, s8
	s_lshl_b64 s[8:9], s[8:9], 1
	s_waitcnt lgkmcnt(0)
	s_add_u32 s23, s18, s8
	s_addc_u32 s18, s19, s9
	s_abs_i32 s24, s0
	v_cvt_f32_u32_e32 v1, s24
	s_sub_i32 s8, 0, s24
	s_and_b32 s25, s1, 0xffff
	s_ashr_i32 s1, s0, 31
	v_rcp_iflag_f32_e32 v1, v1
	v_mov_b32_e32 v3, s18
	s_lshl_b64 s[18:19], s[0:1], 1
	s_sub_i32 s26, 0, s0
	v_mul_f32_e32 v1, 0x4f7ffffe, v1
	v_cvt_u32_f32_e32 v1, v1
	v_mov_b32_e32 v4, s22
	v_mov_b32_e32 v5, s21
	;; [unrolled: 1-line block ×3, first 2 shown]
	v_mul_lo_u32 v2, s8, v1
	v_mul_hi_u32 v2, v1, v2
	v_add_u32_e32 v1, v1, v2
	s_mov_b64 s[8:9], 0
	v_mov_b32_e32 v2, v0
.LBB18_2:                               ; =>This Inner Loop Header: Depth=1
	v_sub_u32_e32 v8, 0, v2
	v_max_i32_e32 v8, v2, v8
	v_mul_hi_u32 v9, v8, v1
	v_mul_lo_u32 v10, v9, s24
	v_sub_u32_e32 v8, v8, v10
	v_add_u32_e32 v11, 1, v9
	v_cmp_le_u32_e32 vcc, s24, v8
	v_subrev_u32_e32 v10, s24, v8
	v_cndmask_b32_e32 v9, v9, v11, vcc
	v_cndmask_b32_e32 v8, v8, v10, vcc
	v_ashrrev_i32_e32 v7, 31, v2
	v_add_u32_e32 v10, 1, v9
	v_cmp_le_u32_e32 vcc, s24, v8
	v_xor_b32_e32 v7, s1, v7
	v_cndmask_b32_e32 v8, v9, v10, vcc
	v_xor_b32_e32 v8, v8, v7
	v_sub_u32_e32 v7, v8, v7
	v_mul_lo_u32 v8, v7, s14
	v_ashrrev_i32_e32 v9, 31, v8
	v_mad_u64_u32 v[10:11], s[28:29], s26, v7, v[2:3]
	v_lshlrev_b64 v[8:9], 1, v[8:9]
	v_ashrrev_i32_e32 v11, 31, v10
	v_add_co_u32_e32 v7, vcc, s23, v8
	v_lshlrev_b64 v[10:11], 1, v[10:11]
	v_addc_co_u32_e32 v14, vcc, v3, v9, vcc
	v_add_co_u32_e32 v8, vcc, s15, v10
	v_addc_co_u32_e32 v9, vcc, v4, v11, vcc
	v_add_co_u32_e32 v12, vcc, s20, v10
	v_addc_co_u32_e32 v13, vcc, v5, v11, vcc
	global_load_ushort v15, v[8:9], off
	global_load_ushort v16, v[12:13], off
	v_add_co_u32_e32 v8, vcc, v7, v10
	v_addc_co_u32_e32 v9, vcc, v14, v11, vcc
	v_add_co_u32_e32 v10, vcc, s18, v8
	v_addc_co_u32_e32 v11, vcc, v9, v6, vcc
	global_load_ushort v7, v[8:9], off
	global_load_ushort v12, v[10:11], off
	v_add_u32_e32 v2, s25, v2
	v_cmp_le_i32_e32 vcc, s12, v2
	s_or_b64 s[8:9], vcc, s[8:9]
	s_waitcnt vmcnt(0)
	v_mul_f16_e32 v13, v16, v12
	v_mul_f16_e32 v12, v15, v12
	v_fma_f16 v13, v15, v7, -v13
	v_fma_f16 v7, v16, v7, v12
	global_store_short v[8:9], v13, off
	global_store_short v[10:11], v7, off
	s_andn2_b64 exec, exec, s[8:9]
	s_cbranch_execnz .LBB18_2
.LBB18_3:
	s_or_b64 exec, exec, s[2:3]
	s_mul_i32 s8, s0, s13
	v_cmp_gt_i32_e32 vcc, s8, v0
	s_and_saveexec_b64 s[2:3], vcc
	s_cbranch_execz .LBB18_6
; %bb.4:
	s_mul_i32 s1, s6, s11
	s_mul_hi_u32 s2, s6, s10
	s_add_i32 s1, s2, s1
	s_mul_i32 s2, s7, s10
	s_add_i32 s3, s1, s2
	s_mul_i32 s2, s6, s10
	s_lshl_b64 s[2:3], s[2:3], 1
	s_add_u32 s6, s16, s2
	s_addc_u32 s11, s17, s3
	s_abs_i32 s7, s0
	v_cvt_f32_u32_e32 v1, s7
	s_load_dword s1, s[4:5], 0x64
	s_sub_i32 s2, 0, s7
	s_sub_i32 s10, 0, s0
	v_rcp_iflag_f32_e32 v1, v1
	v_mov_b32_e32 v3, s22
	s_waitcnt lgkmcnt(0)
	s_and_b32 s9, s1, 0xffff
	s_ashr_i32 s1, s0, 31
	v_mul_f32_e32 v1, 0x4f7ffffe, v1
	v_cvt_u32_f32_e32 v1, v1
	s_lshl_b64 s[4:5], s[0:1], 1
	v_mov_b32_e32 v4, s21
	v_mov_b32_e32 v5, s5
	v_mul_lo_u32 v2, s2, v1
	v_mul_hi_u32 v2, v1, v2
	v_add_u32_e32 v1, v1, v2
	s_mov_b64 s[2:3], 0
	v_mov_b32_e32 v2, s11
.LBB18_5:                               ; =>This Inner Loop Header: Depth=1
	v_sub_u32_e32 v7, 0, v0
	v_max_i32_e32 v7, v0, v7
	v_mul_hi_u32 v8, v7, v1
	v_mul_lo_u32 v9, v8, s7
	v_sub_u32_e32 v7, v7, v9
	v_add_u32_e32 v10, 1, v8
	v_cmp_le_u32_e32 vcc, s7, v7
	v_subrev_u32_e32 v9, s7, v7
	v_cndmask_b32_e32 v8, v8, v10, vcc
	v_cndmask_b32_e32 v7, v7, v9, vcc
	v_ashrrev_i32_e32 v6, 31, v0
	v_add_u32_e32 v9, 1, v8
	v_cmp_le_u32_e32 vcc, s7, v7
	v_xor_b32_e32 v6, s1, v6
	v_cndmask_b32_e32 v7, v8, v9, vcc
	v_xor_b32_e32 v7, v7, v6
	v_sub_u32_e32 v7, v7, v6
	v_mul_lo_u32 v6, v7, s14
	v_mad_u64_u32 v[8:9], s[12:13], s10, v7, v[0:1]
	v_ashrrev_i32_e32 v7, 31, v6
	v_lshlrev_b64 v[6:7], 1, v[6:7]
	v_ashrrev_i32_e32 v9, 31, v8
	v_add_co_u32_e32 v12, vcc, s6, v6
	v_lshlrev_b64 v[8:9], 1, v[8:9]
	v_addc_co_u32_e32 v13, vcc, v2, v7, vcc
	v_add_co_u32_e32 v6, vcc, s15, v8
	v_addc_co_u32_e32 v7, vcc, v3, v9, vcc
	v_add_co_u32_e32 v10, vcc, s20, v8
	v_addc_co_u32_e32 v11, vcc, v4, v9, vcc
	global_load_ushort v14, v[6:7], off
	global_load_ushort v15, v[10:11], off
	v_add_co_u32_e32 v6, vcc, v12, v8
	v_addc_co_u32_e32 v7, vcc, v13, v9, vcc
	v_add_co_u32_e32 v8, vcc, s4, v6
	v_addc_co_u32_e32 v9, vcc, v7, v5, vcc
	global_load_ushort v10, v[6:7], off
	global_load_ushort v11, v[8:9], off
	v_add_u32_e32 v0, s9, v0
	v_cmp_le_i32_e32 vcc, s8, v0
	s_or_b64 s[2:3], vcc, s[2:3]
	s_waitcnt vmcnt(0)
	v_mul_f16_e32 v12, v15, v11
	v_mul_f16_e32 v11, v14, v11
	v_fma_f16 v12, v14, v10, -v12
	v_fma_f16 v10, v15, v10, v11
	global_store_short v[6:7], v12, off
	global_store_short v[8:9], v10, off
	s_andn2_b64 exec, exec, s[2:3]
	s_cbranch_execnz .LBB18_5
.LBB18_6:
	s_endpgm
	.section	.rodata,"a",@progbits
	.p2align	6, 0x0
	.amdhsa_kernel _ZN4vllm31batched_rotary_embedding_kernelIN3c104HalfELb1ELb0EEEvPKlPT_S6_PKS5_S8_S4_illiii
		.amdhsa_group_segment_fixed_size 0
		.amdhsa_private_segment_fixed_size 0
		.amdhsa_kernarg_size 344
		.amdhsa_user_sgpr_count 6
		.amdhsa_user_sgpr_private_segment_buffer 1
		.amdhsa_user_sgpr_dispatch_ptr 0
		.amdhsa_user_sgpr_queue_ptr 0
		.amdhsa_user_sgpr_kernarg_segment_ptr 1
		.amdhsa_user_sgpr_dispatch_id 0
		.amdhsa_user_sgpr_flat_scratch_init 0
		.amdhsa_user_sgpr_kernarg_preload_length 0
		.amdhsa_user_sgpr_kernarg_preload_offset 0
		.amdhsa_user_sgpr_private_segment_size 0
		.amdhsa_uses_dynamic_stack 0
		.amdhsa_system_sgpr_private_segment_wavefront_offset 0
		.amdhsa_system_sgpr_workgroup_id_x 1
		.amdhsa_system_sgpr_workgroup_id_y 0
		.amdhsa_system_sgpr_workgroup_id_z 0
		.amdhsa_system_sgpr_workgroup_info 0
		.amdhsa_system_vgpr_workitem_id 0
		.amdhsa_next_free_vgpr 17
		.amdhsa_next_free_sgpr 30
		.amdhsa_accum_offset 20
		.amdhsa_reserve_vcc 1
		.amdhsa_reserve_flat_scratch 0
		.amdhsa_float_round_mode_32 0
		.amdhsa_float_round_mode_16_64 0
		.amdhsa_float_denorm_mode_32 3
		.amdhsa_float_denorm_mode_16_64 3
		.amdhsa_dx10_clamp 1
		.amdhsa_ieee_mode 1
		.amdhsa_fp16_overflow 0
		.amdhsa_tg_split 0
		.amdhsa_exception_fp_ieee_invalid_op 0
		.amdhsa_exception_fp_denorm_src 0
		.amdhsa_exception_fp_ieee_div_zero 0
		.amdhsa_exception_fp_ieee_overflow 0
		.amdhsa_exception_fp_ieee_underflow 0
		.amdhsa_exception_fp_ieee_inexact 0
		.amdhsa_exception_int_div_zero 0
	.end_amdhsa_kernel
	.section	.text._ZN4vllm31batched_rotary_embedding_kernelIN3c104HalfELb1ELb0EEEvPKlPT_S6_PKS5_S8_S4_illiii,"axG",@progbits,_ZN4vllm31batched_rotary_embedding_kernelIN3c104HalfELb1ELb0EEEvPKlPT_S6_PKS5_S8_S4_illiii,comdat
.Lfunc_end18:
	.size	_ZN4vllm31batched_rotary_embedding_kernelIN3c104HalfELb1ELb0EEEvPKlPT_S6_PKS5_S8_S4_illiii, .Lfunc_end18-_ZN4vllm31batched_rotary_embedding_kernelIN3c104HalfELb1ELb0EEEvPKlPT_S6_PKS5_S8_S4_illiii
                                        ; -- End function
	.section	.AMDGPU.csdata,"",@progbits
; Kernel info:
; codeLenInByte = 988
; NumSgprs: 34
; NumVgprs: 17
; NumAgprs: 0
; TotalNumVgprs: 17
; ScratchSize: 0
; MemoryBound: 0
; FloatMode: 240
; IeeeMode: 1
; LDSByteSize: 0 bytes/workgroup (compile time only)
; SGPRBlocks: 4
; VGPRBlocks: 2
; NumSGPRsForWavesPerEU: 34
; NumVGPRsForWavesPerEU: 17
; AccumOffset: 20
; Occupancy: 8
; WaveLimiterHint : 1
; COMPUTE_PGM_RSRC2:SCRATCH_EN: 0
; COMPUTE_PGM_RSRC2:USER_SGPR: 6
; COMPUTE_PGM_RSRC2:TRAP_HANDLER: 0
; COMPUTE_PGM_RSRC2:TGID_X_EN: 1
; COMPUTE_PGM_RSRC2:TGID_Y_EN: 0
; COMPUTE_PGM_RSRC2:TGID_Z_EN: 0
; COMPUTE_PGM_RSRC2:TIDIG_COMP_CNT: 0
; COMPUTE_PGM_RSRC3_GFX90A:ACCUM_OFFSET: 4
; COMPUTE_PGM_RSRC3_GFX90A:TG_SPLIT: 0
	.section	.text._ZN4vllm31batched_rotary_embedding_kernelIN3c104HalfELb0ELb1EEEvPKlPT_S6_PKS5_S8_S4_illiii,"axG",@progbits,_ZN4vllm31batched_rotary_embedding_kernelIN3c104HalfELb0ELb1EEEvPKlPT_S6_PKS5_S8_S4_illiii,comdat
	.protected	_ZN4vllm31batched_rotary_embedding_kernelIN3c104HalfELb0ELb1EEEvPKlPT_S6_PKS5_S8_S4_illiii ; -- Begin function _ZN4vllm31batched_rotary_embedding_kernelIN3c104HalfELb0ELb1EEEvPKlPT_S6_PKS5_S8_S4_illiii
	.globl	_ZN4vllm31batched_rotary_embedding_kernelIN3c104HalfELb0ELb1EEEvPKlPT_S6_PKS5_S8_S4_illiii
	.p2align	8
	.type	_ZN4vllm31batched_rotary_embedding_kernelIN3c104HalfELb0ELb1EEEvPKlPT_S6_PKS5_S8_S4_illiii,@function
_ZN4vllm31batched_rotary_embedding_kernelIN3c104HalfELb0ELb1EEEvPKlPT_S6_PKS5_S8_S4_illiii: ; @_ZN4vllm31batched_rotary_embedding_kernelIN3c104HalfELb0ELb1EEEvPKlPT_S6_PKS5_S8_S4_illiii
; %bb.0:
	s_load_dword s24, s[4:5], 0x30
	s_load_dwordx2 s[0:1], s[4:5], 0x0
	s_load_dwordx8 s[16:23], s[4:5], 0x10
	s_ashr_i32 s7, s6, 31
	s_lshl_b64 s[2:3], s[6:7], 3
	s_waitcnt lgkmcnt(0)
	s_ashr_i32 s25, s24, 31
	s_add_u32 s0, s0, s2
	s_addc_u32 s1, s1, s3
	s_add_u32 s2, s22, s2
	s_load_dwordx2 s[0:1], s[0:1], 0x0
	s_addc_u32 s3, s23, s3
	s_load_dwordx2 s[22:23], s[2:3], 0x0
	s_load_dwordx8 s[8:15], s[4:5], 0x38
	v_lshlrev_b32_e32 v2, 1, v0
	s_waitcnt lgkmcnt(0)
	s_add_u32 s0, s22, s0
	s_addc_u32 s1, s23, s1
	s_mul_i32 s2, s0, s25
	s_mul_hi_u32 s3, s0, s24
	s_add_i32 s2, s3, s2
	s_mul_i32 s1, s1, s24
	s_add_i32 s2, s2, s1
	s_mul_i32 s0, s0, s24
	s_lshr_b32 s1, s2, 31
	s_add_u32 s0, s0, s1
	s_addc_u32 s1, s2, 0
	s_and_b32 s0, s0, -2
	s_add_u32 s15, s18, s0
	s_addc_u32 s19, s19, s1
	s_add_u32 s18, s20, s0
	s_addc_u32 s20, s21, s1
	s_lshr_b32 s0, s24, 31
	s_add_i32 s0, s24, s0
	s_ashr_i32 s21, s0, 1
	s_mul_i32 s12, s21, s12
	s_sub_i32 s0, s14, s24
	s_ashr_i32 s1, s0, 31
	v_cmp_gt_i32_e32 vcc, s12, v0
	s_and_saveexec_b64 s[2:3], vcc
	s_cbranch_execz .LBB19_3
; %bb.1:
	s_load_dwordx2 s[22:23], s[4:5], 0x8
	s_load_dword s27, s[4:5], 0x64
	s_lshl_b64 s[24:25], s[0:1], 1
	s_mul_i32 s9, s6, s9
	s_mul_hi_u32 s26, s6, s8
	s_waitcnt lgkmcnt(0)
	s_add_u32 s22, s22, s24
	s_addc_u32 s23, s23, s25
	s_add_i32 s9, s26, s9
	s_mul_i32 s24, s7, s8
	s_add_i32 s9, s9, s24
	s_mul_i32 s8, s6, s8
	s_lshl_b64 s[8:9], s[8:9], 1
	s_add_u32 s22, s22, s8
	s_addc_u32 s29, s23, s9
	s_abs_i32 s23, s21
	v_cvt_f32_u32_e32 v1, s23
	s_sub_i32 s9, 0, s23
	s_and_b32 s24, s27, 0xffff
	s_lshl_b32 s8, s21, 1
	v_rcp_iflag_f32_e32 v1, v1
	s_ashr_i32 s25, s21, 31
	s_sub_i32 s26, 0, s8
	v_lshlrev_b32_e32 v4, 1, v0
	v_mul_f32_e32 v1, 0x4f7ffffe, v1
	v_cvt_u32_f32_e32 v1, v1
	s_lshl_b32 s27, s24, 1
	s_sub_i32 s28, 0, s21
	v_mov_b32_e32 v5, s19
	v_mul_lo_u32 v3, s9, v1
	v_mul_hi_u32 v3, v1, v3
	v_add_u32_e32 v1, v1, v3
	s_mov_b64 s[8:9], 0
	v_mov_b32_e32 v3, s29
	v_mov_b32_e32 v7, s20
	;; [unrolled: 1-line block ×3, first 2 shown]
.LBB19_2:                               ; =>This Inner Loop Header: Depth=1
	v_sub_u32_e32 v9, 0, v6
	v_max_i32_e32 v9, v6, v9
	v_mul_hi_u32 v10, v9, v1
	v_mul_lo_u32 v11, v10, s23
	v_sub_u32_e32 v9, v9, v11
	v_add_u32_e32 v12, 1, v10
	v_cmp_le_u32_e32 vcc, s23, v9
	v_subrev_u32_e32 v11, s23, v9
	v_cndmask_b32_e32 v10, v10, v12, vcc
	v_cndmask_b32_e32 v9, v9, v11, vcc
	v_ashrrev_i32_e32 v8, 31, v6
	v_add_u32_e32 v11, 1, v10
	v_cmp_le_u32_e32 vcc, s23, v9
	v_xor_b32_e32 v8, s25, v8
	v_cndmask_b32_e32 v9, v10, v11, vcc
	v_xor_b32_e32 v9, v9, v8
	v_sub_u32_e32 v9, v9, v8
	v_mul_lo_u32 v8, v9, s14
	v_mad_u64_u32 v[10:11], s[30:31], s28, v9, v[6:7]
	v_mad_u64_u32 v[12:13], s[30:31], s26, v9, v[4:5]
	v_ashrrev_i32_e32 v9, 31, v8
	v_lshlrev_b64 v[8:9], 1, v[8:9]
	v_ashrrev_i32_e32 v11, 31, v10
	v_add_co_u32_e32 v14, vcc, s22, v8
	v_lshlrev_b64 v[10:11], 1, v[10:11]
	v_addc_co_u32_e32 v15, vcc, v3, v9, vcc
	v_add_co_u32_e32 v8, vcc, s15, v10
	v_addc_co_u32_e32 v9, vcc, v5, v11, vcc
	v_ashrrev_i32_e32 v13, 31, v12
	v_add_co_u32_e32 v10, vcc, s18, v10
	v_lshlrev_b64 v[12:13], 1, v[12:13]
	v_addc_co_u32_e32 v11, vcc, v7, v11, vcc
	global_load_ushort v16, v[8:9], off
	global_load_ushort v17, v[10:11], off
	v_add_co_u32_e32 v8, vcc, v14, v12
	v_addc_co_u32_e32 v9, vcc, v15, v13, vcc
	global_load_dword v10, v[8:9], off
	v_add_u32_e32 v6, s24, v6
	v_cmp_le_i32_e32 vcc, s12, v6
	v_add_u32_e32 v4, s27, v4
	s_or_b64 s[8:9], vcc, s[8:9]
	s_waitcnt vmcnt(0)
	v_mul_f16_sdwa v11, v17, v10 dst_sel:DWORD dst_unused:UNUSED_PAD src0_sel:DWORD src1_sel:WORD_1
	v_mul_f16_sdwa v12, v16, v10 dst_sel:DWORD dst_unused:UNUSED_PAD src0_sel:DWORD src1_sel:WORD_1
	v_fma_f16 v11, v16, v10, -v11
	v_fma_f16 v10, v17, v10, v12
	v_pack_b32_f16 v10, v11, v10
	global_store_dword v[8:9], v10, off
	s_andn2_b64 exec, exec, s[8:9]
	s_cbranch_execnz .LBB19_2
.LBB19_3:
	s_or_b64 exec, exec, s[2:3]
	s_mul_i32 s2, s21, s13
	v_cmp_gt_i32_e32 vcc, s2, v0
	s_and_saveexec_b64 s[8:9], vcc
	s_cbranch_execz .LBB19_6
; %bb.4:
	s_lshl_b64 s[0:1], s[0:1], 1
	s_add_u32 s3, s16, s0
	s_addc_u32 s8, s17, s1
	s_mul_i32 s0, s6, s11
	s_mul_hi_u32 s1, s6, s10
	s_add_i32 s0, s1, s0
	s_mul_i32 s1, s7, s10
	s_add_i32 s1, s0, s1
	s_mul_i32 s0, s6, s10
	s_lshl_b64 s[0:1], s[0:1], 1
	s_add_u32 s3, s3, s0
	s_addc_u32 s10, s8, s1
	s_abs_i32 s6, s21
	v_cvt_f32_u32_e32 v1, s6
	s_load_dword s0, s[4:5], 0x64
	s_ashr_i32 s5, s21, 31
	s_sub_i32 s9, 0, s21
	v_rcp_iflag_f32_e32 v1, v1
	v_mov_b32_e32 v4, s19
	s_waitcnt lgkmcnt(0)
	s_and_b32 s4, s0, 0xffff
	s_sub_i32 s0, 0, s6
	v_mul_f32_e32 v1, 0x4f7ffffe, v1
	v_cvt_u32_f32_e32 v1, v1
	s_lshl_b32 s8, s4, 1
	v_mov_b32_e32 v5, s20
	v_mul_lo_u32 v3, s0, v1
	v_mul_hi_u32 v3, v1, v3
	s_lshl_b32 s0, s21, 1
	v_add_u32_e32 v1, v1, v3
	s_sub_i32 s7, 0, s0
	s_mov_b64 s[0:1], 0
	v_mov_b32_e32 v3, s10
.LBB19_5:                               ; =>This Inner Loop Header: Depth=1
	v_sub_u32_e32 v7, 0, v0
	v_max_i32_e32 v7, v0, v7
	v_mul_hi_u32 v8, v7, v1
	v_mul_lo_u32 v9, v8, s6
	v_sub_u32_e32 v7, v7, v9
	v_add_u32_e32 v10, 1, v8
	v_cmp_le_u32_e32 vcc, s6, v7
	v_subrev_u32_e32 v9, s6, v7
	v_cndmask_b32_e32 v8, v8, v10, vcc
	v_cndmask_b32_e32 v7, v7, v9, vcc
	v_ashrrev_i32_e32 v6, 31, v0
	v_add_u32_e32 v9, 1, v8
	v_cmp_le_u32_e32 vcc, s6, v7
	v_xor_b32_e32 v6, s5, v6
	v_cndmask_b32_e32 v7, v8, v9, vcc
	v_xor_b32_e32 v7, v7, v6
	v_sub_u32_e32 v7, v7, v6
	v_mul_lo_u32 v6, v7, s14
	v_mad_u64_u32 v[8:9], s[10:11], s9, v7, v[0:1]
	v_mad_u64_u32 v[10:11], s[10:11], s7, v7, v[2:3]
	v_ashrrev_i32_e32 v7, 31, v6
	v_lshlrev_b64 v[6:7], 1, v[6:7]
	v_ashrrev_i32_e32 v9, 31, v8
	v_add_co_u32_e32 v12, vcc, s3, v6
	v_lshlrev_b64 v[8:9], 1, v[8:9]
	v_addc_co_u32_e32 v13, vcc, v3, v7, vcc
	v_add_co_u32_e32 v6, vcc, s15, v8
	v_addc_co_u32_e32 v7, vcc, v4, v9, vcc
	v_ashrrev_i32_e32 v11, 31, v10
	v_add_co_u32_e32 v8, vcc, s18, v8
	v_lshlrev_b64 v[10:11], 1, v[10:11]
	v_addc_co_u32_e32 v9, vcc, v5, v9, vcc
	global_load_ushort v14, v[6:7], off
	global_load_ushort v15, v[8:9], off
	v_add_co_u32_e32 v6, vcc, v12, v10
	v_addc_co_u32_e32 v7, vcc, v13, v11, vcc
	global_load_dword v8, v[6:7], off
	v_add_u32_e32 v0, s4, v0
	v_cmp_le_i32_e32 vcc, s2, v0
	v_add_u32_e32 v2, s8, v2
	s_or_b64 s[0:1], vcc, s[0:1]
	s_waitcnt vmcnt(0)
	v_mul_f16_sdwa v9, v15, v8 dst_sel:DWORD dst_unused:UNUSED_PAD src0_sel:DWORD src1_sel:WORD_1
	v_mul_f16_sdwa v10, v14, v8 dst_sel:DWORD dst_unused:UNUSED_PAD src0_sel:DWORD src1_sel:WORD_1
	v_fma_f16 v9, v14, v8, -v9
	v_fma_f16 v8, v15, v8, v10
	v_pack_b32_f16 v8, v9, v8
	global_store_dword v[6:7], v8, off
	s_andn2_b64 exec, exec, s[0:1]
	s_cbranch_execnz .LBB19_5
.LBB19_6:
	s_endpgm
	.section	.rodata,"a",@progbits
	.p2align	6, 0x0
	.amdhsa_kernel _ZN4vllm31batched_rotary_embedding_kernelIN3c104HalfELb0ELb1EEEvPKlPT_S6_PKS5_S8_S4_illiii
		.amdhsa_group_segment_fixed_size 0
		.amdhsa_private_segment_fixed_size 0
		.amdhsa_kernarg_size 344
		.amdhsa_user_sgpr_count 6
		.amdhsa_user_sgpr_private_segment_buffer 1
		.amdhsa_user_sgpr_dispatch_ptr 0
		.amdhsa_user_sgpr_queue_ptr 0
		.amdhsa_user_sgpr_kernarg_segment_ptr 1
		.amdhsa_user_sgpr_dispatch_id 0
		.amdhsa_user_sgpr_flat_scratch_init 0
		.amdhsa_user_sgpr_kernarg_preload_length 0
		.amdhsa_user_sgpr_kernarg_preload_offset 0
		.amdhsa_user_sgpr_private_segment_size 0
		.amdhsa_uses_dynamic_stack 0
		.amdhsa_system_sgpr_private_segment_wavefront_offset 0
		.amdhsa_system_sgpr_workgroup_id_x 1
		.amdhsa_system_sgpr_workgroup_id_y 0
		.amdhsa_system_sgpr_workgroup_id_z 0
		.amdhsa_system_sgpr_workgroup_info 0
		.amdhsa_system_vgpr_workitem_id 0
		.amdhsa_next_free_vgpr 18
		.amdhsa_next_free_sgpr 32
		.amdhsa_accum_offset 20
		.amdhsa_reserve_vcc 1
		.amdhsa_reserve_flat_scratch 0
		.amdhsa_float_round_mode_32 0
		.amdhsa_float_round_mode_16_64 0
		.amdhsa_float_denorm_mode_32 3
		.amdhsa_float_denorm_mode_16_64 3
		.amdhsa_dx10_clamp 1
		.amdhsa_ieee_mode 1
		.amdhsa_fp16_overflow 0
		.amdhsa_tg_split 0
		.amdhsa_exception_fp_ieee_invalid_op 0
		.amdhsa_exception_fp_denorm_src 0
		.amdhsa_exception_fp_ieee_div_zero 0
		.amdhsa_exception_fp_ieee_overflow 0
		.amdhsa_exception_fp_ieee_underflow 0
		.amdhsa_exception_fp_ieee_inexact 0
		.amdhsa_exception_int_div_zero 0
	.end_amdhsa_kernel
	.section	.text._ZN4vllm31batched_rotary_embedding_kernelIN3c104HalfELb0ELb1EEEvPKlPT_S6_PKS5_S8_S4_illiii,"axG",@progbits,_ZN4vllm31batched_rotary_embedding_kernelIN3c104HalfELb0ELb1EEEvPKlPT_S6_PKS5_S8_S4_illiii,comdat
.Lfunc_end19:
	.size	_ZN4vllm31batched_rotary_embedding_kernelIN3c104HalfELb0ELb1EEEvPKlPT_S6_PKS5_S8_S4_illiii, .Lfunc_end19-_ZN4vllm31batched_rotary_embedding_kernelIN3c104HalfELb0ELb1EEEvPKlPT_S6_PKS5_S8_S4_illiii
                                        ; -- End function
	.section	.AMDGPU.csdata,"",@progbits
; Kernel info:
; codeLenInByte = 1068
; NumSgprs: 36
; NumVgprs: 18
; NumAgprs: 0
; TotalNumVgprs: 18
; ScratchSize: 0
; MemoryBound: 0
; FloatMode: 240
; IeeeMode: 1
; LDSByteSize: 0 bytes/workgroup (compile time only)
; SGPRBlocks: 4
; VGPRBlocks: 2
; NumSGPRsForWavesPerEU: 36
; NumVGPRsForWavesPerEU: 18
; AccumOffset: 20
; Occupancy: 8
; WaveLimiterHint : 1
; COMPUTE_PGM_RSRC2:SCRATCH_EN: 0
; COMPUTE_PGM_RSRC2:USER_SGPR: 6
; COMPUTE_PGM_RSRC2:TRAP_HANDLER: 0
; COMPUTE_PGM_RSRC2:TGID_X_EN: 1
; COMPUTE_PGM_RSRC2:TGID_Y_EN: 0
; COMPUTE_PGM_RSRC2:TGID_Z_EN: 0
; COMPUTE_PGM_RSRC2:TIDIG_COMP_CNT: 0
; COMPUTE_PGM_RSRC3_GFX90A:ACCUM_OFFSET: 4
; COMPUTE_PGM_RSRC3_GFX90A:TG_SPLIT: 0
	.section	.text._ZN4vllm31batched_rotary_embedding_kernelIN3c104HalfELb0ELb0EEEvPKlPT_S6_PKS5_S8_S4_illiii,"axG",@progbits,_ZN4vllm31batched_rotary_embedding_kernelIN3c104HalfELb0ELb0EEEvPKlPT_S6_PKS5_S8_S4_illiii,comdat
	.protected	_ZN4vllm31batched_rotary_embedding_kernelIN3c104HalfELb0ELb0EEEvPKlPT_S6_PKS5_S8_S4_illiii ; -- Begin function _ZN4vllm31batched_rotary_embedding_kernelIN3c104HalfELb0ELb0EEEvPKlPT_S6_PKS5_S8_S4_illiii
	.globl	_ZN4vllm31batched_rotary_embedding_kernelIN3c104HalfELb0ELb0EEEvPKlPT_S6_PKS5_S8_S4_illiii
	.p2align	8
	.type	_ZN4vllm31batched_rotary_embedding_kernelIN3c104HalfELb0ELb0EEEvPKlPT_S6_PKS5_S8_S4_illiii,@function
_ZN4vllm31batched_rotary_embedding_kernelIN3c104HalfELb0ELb0EEEvPKlPT_S6_PKS5_S8_S4_illiii: ; @_ZN4vllm31batched_rotary_embedding_kernelIN3c104HalfELb0ELb0EEEvPKlPT_S6_PKS5_S8_S4_illiii
; %bb.0:
	s_load_dword s24, s[4:5], 0x30
	s_load_dwordx2 s[0:1], s[4:5], 0x0
	s_load_dwordx8 s[16:23], s[4:5], 0x10
	s_ashr_i32 s7, s6, 31
	s_lshl_b64 s[2:3], s[6:7], 3
	s_waitcnt lgkmcnt(0)
	s_ashr_i32 s25, s24, 31
	s_add_u32 s0, s0, s2
	s_addc_u32 s1, s1, s3
	s_add_u32 s2, s22, s2
	s_load_dwordx2 s[0:1], s[0:1], 0x0
	s_addc_u32 s3, s23, s3
	s_load_dwordx2 s[22:23], s[2:3], 0x0
	s_load_dwordx8 s[8:15], s[4:5], 0x38
	v_lshlrev_b32_e32 v2, 1, v0
	s_waitcnt lgkmcnt(0)
	s_add_u32 s0, s22, s0
	s_addc_u32 s1, s23, s1
	s_mul_i32 s2, s0, s25
	s_mul_hi_u32 s3, s0, s24
	s_add_i32 s2, s3, s2
	s_mul_i32 s1, s1, s24
	s_add_i32 s2, s2, s1
	s_mul_i32 s0, s0, s24
	s_lshr_b32 s1, s2, 31
	s_add_u32 s0, s0, s1
	s_addc_u32 s1, s2, 0
	s_and_b32 s0, s0, -2
	s_add_u32 s15, s18, s0
	s_addc_u32 s19, s19, s1
	s_add_u32 s18, s20, s0
	s_addc_u32 s20, s21, s1
	s_lshr_b32 s0, s24, 31
	s_add_i32 s24, s24, s0
	s_ashr_i32 s21, s24, 1
	s_mul_i32 s12, s21, s12
	v_cmp_gt_i32_e32 vcc, s12, v0
	s_and_saveexec_b64 s[0:1], vcc
	s_cbranch_execz .LBB20_3
; %bb.1:
	s_mul_i32 s2, s6, s9
	s_mul_hi_u32 s3, s6, s8
	s_add_i32 s9, s3, s2
	s_load_dwordx2 s[2:3], s[4:5], 0x8
	s_mul_i32 s22, s7, s8
	s_add_i32 s9, s9, s22
	s_load_dword s22, s[4:5], 0x64
	s_mul_i32 s8, s6, s8
	s_lshl_b64 s[8:9], s[8:9], 1
	s_waitcnt lgkmcnt(0)
	s_add_u32 s8, s2, s8
	s_addc_u32 s27, s3, s9
	s_abs_i32 s9, s21
	v_cvt_f32_u32_e32 v1, s9
	s_sub_i32 s3, 0, s9
	s_and_b32 s22, s22, 0xffff
	s_lshl_b32 s2, s21, 1
	v_rcp_iflag_f32_e32 v1, v1
	s_ashr_i32 s23, s21, 31
	s_sub_i32 s24, 0, s2
	v_lshlrev_b32_e32 v4, 1, v0
	v_mul_f32_e32 v1, 0x4f7ffffe, v1
	v_cvt_u32_f32_e32 v1, v1
	s_lshl_b32 s25, s22, 1
	s_sub_i32 s26, 0, s21
	v_mov_b32_e32 v5, s19
	v_mul_lo_u32 v3, s3, v1
	v_mul_hi_u32 v3, v1, v3
	v_add_u32_e32 v1, v1, v3
	s_mov_b64 s[2:3], 0
	v_mov_b32_e32 v3, s27
	v_mov_b32_e32 v7, s20
	;; [unrolled: 1-line block ×3, first 2 shown]
.LBB20_2:                               ; =>This Inner Loop Header: Depth=1
	v_sub_u32_e32 v9, 0, v6
	v_max_i32_e32 v9, v6, v9
	v_mul_hi_u32 v10, v9, v1
	v_mul_lo_u32 v11, v10, s9
	v_sub_u32_e32 v9, v9, v11
	v_add_u32_e32 v12, 1, v10
	v_cmp_le_u32_e32 vcc, s9, v9
	v_subrev_u32_e32 v11, s9, v9
	v_cndmask_b32_e32 v10, v10, v12, vcc
	v_cndmask_b32_e32 v9, v9, v11, vcc
	v_ashrrev_i32_e32 v8, 31, v6
	v_add_u32_e32 v11, 1, v10
	v_cmp_le_u32_e32 vcc, s9, v9
	v_xor_b32_e32 v8, s23, v8
	v_cndmask_b32_e32 v9, v10, v11, vcc
	v_xor_b32_e32 v9, v9, v8
	v_sub_u32_e32 v9, v9, v8
	v_mul_lo_u32 v8, v9, s14
	v_mad_u64_u32 v[10:11], s[28:29], s26, v9, v[6:7]
	v_mad_u64_u32 v[12:13], s[28:29], s24, v9, v[4:5]
	v_ashrrev_i32_e32 v9, 31, v8
	v_lshlrev_b64 v[8:9], 1, v[8:9]
	v_ashrrev_i32_e32 v11, 31, v10
	v_add_co_u32_e32 v14, vcc, s8, v8
	v_lshlrev_b64 v[10:11], 1, v[10:11]
	v_addc_co_u32_e32 v15, vcc, v3, v9, vcc
	v_add_co_u32_e32 v8, vcc, s15, v10
	v_addc_co_u32_e32 v9, vcc, v5, v11, vcc
	v_ashrrev_i32_e32 v13, 31, v12
	v_add_co_u32_e32 v10, vcc, s18, v10
	v_lshlrev_b64 v[12:13], 1, v[12:13]
	v_addc_co_u32_e32 v11, vcc, v7, v11, vcc
	global_load_ushort v16, v[8:9], off
	global_load_ushort v17, v[10:11], off
	v_add_co_u32_e32 v8, vcc, v14, v12
	v_addc_co_u32_e32 v9, vcc, v15, v13, vcc
	global_load_dword v10, v[8:9], off
	v_add_u32_e32 v6, s22, v6
	v_cmp_le_i32_e32 vcc, s12, v6
	v_add_u32_e32 v4, s25, v4
	s_or_b64 s[2:3], vcc, s[2:3]
	s_waitcnt vmcnt(0)
	v_mul_f16_sdwa v11, v17, v10 dst_sel:DWORD dst_unused:UNUSED_PAD src0_sel:DWORD src1_sel:WORD_1
	v_mul_f16_sdwa v12, v16, v10 dst_sel:DWORD dst_unused:UNUSED_PAD src0_sel:DWORD src1_sel:WORD_1
	v_fma_f16 v11, v16, v10, -v11
	v_fma_f16 v10, v17, v10, v12
	v_pack_b32_f16 v10, v11, v10
	global_store_dword v[8:9], v10, off
	s_andn2_b64 exec, exec, s[2:3]
	s_cbranch_execnz .LBB20_2
.LBB20_3:
	s_or_b64 exec, exec, s[0:1]
	s_mul_i32 s2, s21, s13
	v_cmp_gt_i32_e32 vcc, s2, v0
	s_and_saveexec_b64 s[0:1], vcc
	s_cbranch_execz .LBB20_6
; %bb.4:
	s_mul_i32 s0, s6, s11
	s_mul_hi_u32 s1, s6, s10
	s_add_i32 s0, s1, s0
	s_mul_i32 s1, s7, s10
	s_add_i32 s1, s0, s1
	s_mul_i32 s0, s6, s10
	s_lshl_b64 s[0:1], s[0:1], 1
	s_add_u32 s3, s16, s0
	s_addc_u32 s10, s17, s1
	s_abs_i32 s6, s21
	v_cvt_f32_u32_e32 v1, s6
	s_load_dword s0, s[4:5], 0x64
	s_sub_i32 s1, 0, s6
	s_ashr_i32 s5, s21, 31
	v_rcp_iflag_f32_e32 v1, v1
	s_sub_i32 s9, 0, s21
	s_waitcnt lgkmcnt(0)
	s_and_b32 s4, s0, 0xffff
	s_lshl_b32 s0, s21, 1
	v_mul_f32_e32 v1, 0x4f7ffffe, v1
	v_cvt_u32_f32_e32 v1, v1
	s_sub_i32 s7, 0, s0
	s_lshl_b32 s8, s4, 1
	v_mov_b32_e32 v4, s19
	v_mul_lo_u32 v3, s1, v1
	v_mul_hi_u32 v3, v1, v3
	v_add_u32_e32 v1, v1, v3
	s_mov_b64 s[0:1], 0
	v_mov_b32_e32 v3, s10
	v_mov_b32_e32 v5, s20
.LBB20_5:                               ; =>This Inner Loop Header: Depth=1
	v_sub_u32_e32 v7, 0, v0
	v_max_i32_e32 v7, v0, v7
	v_mul_hi_u32 v8, v7, v1
	v_mul_lo_u32 v9, v8, s6
	v_sub_u32_e32 v7, v7, v9
	v_add_u32_e32 v10, 1, v8
	v_cmp_le_u32_e32 vcc, s6, v7
	v_subrev_u32_e32 v9, s6, v7
	v_cndmask_b32_e32 v8, v8, v10, vcc
	v_cndmask_b32_e32 v7, v7, v9, vcc
	v_ashrrev_i32_e32 v6, 31, v0
	v_add_u32_e32 v9, 1, v8
	v_cmp_le_u32_e32 vcc, s6, v7
	v_xor_b32_e32 v6, s5, v6
	v_cndmask_b32_e32 v7, v8, v9, vcc
	v_xor_b32_e32 v7, v7, v6
	v_sub_u32_e32 v7, v7, v6
	v_mul_lo_u32 v6, v7, s14
	v_mad_u64_u32 v[8:9], s[10:11], s9, v7, v[0:1]
	v_mad_u64_u32 v[10:11], s[10:11], s7, v7, v[2:3]
	v_ashrrev_i32_e32 v7, 31, v6
	v_lshlrev_b64 v[6:7], 1, v[6:7]
	v_ashrrev_i32_e32 v9, 31, v8
	v_add_co_u32_e32 v12, vcc, s3, v6
	v_lshlrev_b64 v[8:9], 1, v[8:9]
	v_addc_co_u32_e32 v13, vcc, v3, v7, vcc
	v_add_co_u32_e32 v6, vcc, s15, v8
	v_addc_co_u32_e32 v7, vcc, v4, v9, vcc
	v_ashrrev_i32_e32 v11, 31, v10
	v_add_co_u32_e32 v8, vcc, s18, v8
	v_lshlrev_b64 v[10:11], 1, v[10:11]
	v_addc_co_u32_e32 v9, vcc, v5, v9, vcc
	global_load_ushort v14, v[6:7], off
	global_load_ushort v15, v[8:9], off
	v_add_co_u32_e32 v6, vcc, v12, v10
	v_addc_co_u32_e32 v7, vcc, v13, v11, vcc
	global_load_dword v8, v[6:7], off
	v_add_u32_e32 v0, s4, v0
	v_cmp_le_i32_e32 vcc, s2, v0
	v_add_u32_e32 v2, s8, v2
	s_or_b64 s[0:1], vcc, s[0:1]
	s_waitcnt vmcnt(0)
	v_mul_f16_sdwa v9, v15, v8 dst_sel:DWORD dst_unused:UNUSED_PAD src0_sel:DWORD src1_sel:WORD_1
	v_mul_f16_sdwa v10, v14, v8 dst_sel:DWORD dst_unused:UNUSED_PAD src0_sel:DWORD src1_sel:WORD_1
	v_fma_f16 v9, v14, v8, -v9
	v_fma_f16 v8, v15, v8, v10
	v_pack_b32_f16 v8, v9, v8
	global_store_dword v[6:7], v8, off
	s_andn2_b64 exec, exec, s[0:1]
	s_cbranch_execnz .LBB20_5
.LBB20_6:
	s_endpgm
	.section	.rodata,"a",@progbits
	.p2align	6, 0x0
	.amdhsa_kernel _ZN4vllm31batched_rotary_embedding_kernelIN3c104HalfELb0ELb0EEEvPKlPT_S6_PKS5_S8_S4_illiii
		.amdhsa_group_segment_fixed_size 0
		.amdhsa_private_segment_fixed_size 0
		.amdhsa_kernarg_size 344
		.amdhsa_user_sgpr_count 6
		.amdhsa_user_sgpr_private_segment_buffer 1
		.amdhsa_user_sgpr_dispatch_ptr 0
		.amdhsa_user_sgpr_queue_ptr 0
		.amdhsa_user_sgpr_kernarg_segment_ptr 1
		.amdhsa_user_sgpr_dispatch_id 0
		.amdhsa_user_sgpr_flat_scratch_init 0
		.amdhsa_user_sgpr_kernarg_preload_length 0
		.amdhsa_user_sgpr_kernarg_preload_offset 0
		.amdhsa_user_sgpr_private_segment_size 0
		.amdhsa_uses_dynamic_stack 0
		.amdhsa_system_sgpr_private_segment_wavefront_offset 0
		.amdhsa_system_sgpr_workgroup_id_x 1
		.amdhsa_system_sgpr_workgroup_id_y 0
		.amdhsa_system_sgpr_workgroup_id_z 0
		.amdhsa_system_sgpr_workgroup_info 0
		.amdhsa_system_vgpr_workitem_id 0
		.amdhsa_next_free_vgpr 18
		.amdhsa_next_free_sgpr 30
		.amdhsa_accum_offset 20
		.amdhsa_reserve_vcc 1
		.amdhsa_reserve_flat_scratch 0
		.amdhsa_float_round_mode_32 0
		.amdhsa_float_round_mode_16_64 0
		.amdhsa_float_denorm_mode_32 3
		.amdhsa_float_denorm_mode_16_64 3
		.amdhsa_dx10_clamp 1
		.amdhsa_ieee_mode 1
		.amdhsa_fp16_overflow 0
		.amdhsa_tg_split 0
		.amdhsa_exception_fp_ieee_invalid_op 0
		.amdhsa_exception_fp_denorm_src 0
		.amdhsa_exception_fp_ieee_div_zero 0
		.amdhsa_exception_fp_ieee_overflow 0
		.amdhsa_exception_fp_ieee_underflow 0
		.amdhsa_exception_fp_ieee_inexact 0
		.amdhsa_exception_int_div_zero 0
	.end_amdhsa_kernel
	.section	.text._ZN4vllm31batched_rotary_embedding_kernelIN3c104HalfELb0ELb0EEEvPKlPT_S6_PKS5_S8_S4_illiii,"axG",@progbits,_ZN4vllm31batched_rotary_embedding_kernelIN3c104HalfELb0ELb0EEEvPKlPT_S6_PKS5_S8_S4_illiii,comdat
.Lfunc_end20:
	.size	_ZN4vllm31batched_rotary_embedding_kernelIN3c104HalfELb0ELb0EEEvPKlPT_S6_PKS5_S8_S4_illiii, .Lfunc_end20-_ZN4vllm31batched_rotary_embedding_kernelIN3c104HalfELb0ELb0EEEvPKlPT_S6_PKS5_S8_S4_illiii
                                        ; -- End function
	.section	.AMDGPU.csdata,"",@progbits
; Kernel info:
; codeLenInByte = 1036
; NumSgprs: 34
; NumVgprs: 18
; NumAgprs: 0
; TotalNumVgprs: 18
; ScratchSize: 0
; MemoryBound: 0
; FloatMode: 240
; IeeeMode: 1
; LDSByteSize: 0 bytes/workgroup (compile time only)
; SGPRBlocks: 4
; VGPRBlocks: 2
; NumSGPRsForWavesPerEU: 34
; NumVGPRsForWavesPerEU: 18
; AccumOffset: 20
; Occupancy: 8
; WaveLimiterHint : 1
; COMPUTE_PGM_RSRC2:SCRATCH_EN: 0
; COMPUTE_PGM_RSRC2:USER_SGPR: 6
; COMPUTE_PGM_RSRC2:TRAP_HANDLER: 0
; COMPUTE_PGM_RSRC2:TGID_X_EN: 1
; COMPUTE_PGM_RSRC2:TGID_Y_EN: 0
; COMPUTE_PGM_RSRC2:TGID_Z_EN: 0
; COMPUTE_PGM_RSRC2:TIDIG_COMP_CNT: 0
; COMPUTE_PGM_RSRC3_GFX90A:ACCUM_OFFSET: 4
; COMPUTE_PGM_RSRC3_GFX90A:TG_SPLIT: 0
	.section	.text._ZN4vllm31batched_rotary_embedding_kernelIN3c108BFloat16ELb1ELb1EEEvPKlPT_S6_PKS5_S8_S4_illiii,"axG",@progbits,_ZN4vllm31batched_rotary_embedding_kernelIN3c108BFloat16ELb1ELb1EEEvPKlPT_S6_PKS5_S8_S4_illiii,comdat
	.protected	_ZN4vllm31batched_rotary_embedding_kernelIN3c108BFloat16ELb1ELb1EEEvPKlPT_S6_PKS5_S8_S4_illiii ; -- Begin function _ZN4vllm31batched_rotary_embedding_kernelIN3c108BFloat16ELb1ELb1EEEvPKlPT_S6_PKS5_S8_S4_illiii
	.globl	_ZN4vllm31batched_rotary_embedding_kernelIN3c108BFloat16ELb1ELb1EEEvPKlPT_S6_PKS5_S8_S4_illiii
	.p2align	8
	.type	_ZN4vllm31batched_rotary_embedding_kernelIN3c108BFloat16ELb1ELb1EEEvPKlPT_S6_PKS5_S8_S4_illiii,@function
_ZN4vllm31batched_rotary_embedding_kernelIN3c108BFloat16ELb1ELb1EEEvPKlPT_S6_PKS5_S8_S4_illiii: ; @_ZN4vllm31batched_rotary_embedding_kernelIN3c108BFloat16ELb1ELb1EEEvPKlPT_S6_PKS5_S8_S4_illiii
; %bb.0:
	s_load_dword s24, s[4:5], 0x30
	s_load_dwordx2 s[0:1], s[4:5], 0x0
	s_load_dwordx8 s[16:23], s[4:5], 0x10
	s_ashr_i32 s7, s6, 31
	s_lshl_b64 s[2:3], s[6:7], 3
	s_waitcnt lgkmcnt(0)
	s_ashr_i32 s25, s24, 31
	s_add_u32 s0, s0, s2
	s_addc_u32 s1, s1, s3
	s_add_u32 s2, s22, s2
	s_load_dwordx2 s[0:1], s[0:1], 0x0
	s_addc_u32 s3, s23, s3
	s_load_dwordx2 s[22:23], s[2:3], 0x0
	s_load_dwordx8 s[8:15], s[4:5], 0x38
	s_waitcnt lgkmcnt(0)
	s_add_u32 s0, s22, s0
	s_addc_u32 s1, s23, s1
	s_mul_i32 s2, s0, s25
	s_mul_hi_u32 s3, s0, s24
	s_add_i32 s2, s3, s2
	s_mul_i32 s1, s1, s24
	s_add_i32 s2, s2, s1
	s_mul_i32 s0, s0, s24
	s_lshr_b32 s1, s2, 31
	s_add_u32 s0, s0, s1
	s_addc_u32 s1, s2, 0
	s_and_b32 s0, s0, -2
	s_add_u32 s15, s18, s0
	s_addc_u32 s29, s19, s1
	s_add_u32 s28, s20, s0
	s_addc_u32 s30, s21, s1
	s_lshr_b32 s0, s24, 31
	s_add_i32 s0, s24, s0
	s_ashr_i32 s18, s0, 1
	s_mul_i32 s12, s18, s12
	s_sub_i32 s20, s14, s24
	s_ashr_i32 s21, s20, 31
	v_cmp_gt_i32_e32 vcc, s12, v0
	s_and_saveexec_b64 s[22:23], vcc
	s_cbranch_execz .LBB21_3
; %bb.1:
	s_load_dwordx2 s[0:1], s[4:5], 0x8
	s_load_dword s26, s[4:5], 0x64
	s_lshl_b64 s[2:3], s[20:21], 1
	s_mul_i32 s9, s6, s9
	s_mul_hi_u32 s19, s6, s8
	s_waitcnt lgkmcnt(0)
	s_add_u32 s2, s0, s2
	s_addc_u32 s3, s1, s3
	s_add_i32 s0, s19, s9
	s_mul_i32 s1, s7, s8
	s_add_i32 s1, s0, s1
	s_mul_i32 s0, s6, s8
	s_lshl_b64 s[0:1], s[0:1], 1
	s_add_u32 s31, s2, s0
	s_addc_u32 s0, s3, s1
	s_abs_i32 s33, s18
	v_cvt_f32_u32_e32 v1, s33
	s_sub_i32 s1, 0, s33
	s_ashr_i32 s19, s18, 31
	s_and_b32 s34, s26, 0xffff
	v_rcp_iflag_f32_e32 v1, v1
	s_lshl_b64 s[26:27], s[18:19], 1
	s_mov_b64 s[24:25], 0
	s_sub_i32 s35, 0, s18
	v_mul_f32_e32 v1, 0x4f7ffffe, v1
	v_cvt_u32_f32_e32 v1, v1
	v_mov_b32_e32 v3, s0
	v_mov_b32_e32 v8, s29
	;; [unrolled: 1-line block ×3, first 2 shown]
	v_mul_lo_u32 v2, s1, v1
	v_mul_hi_u32 v2, v1, v2
	v_add_u32_e32 v1, v1, v2
	v_mov_b32_e32 v10, s27
	s_movk_i32 s27, 0x7fff
	v_mov_b32_e32 v11, 0x7fc0
	s_mov_b32 s36, 0x5040100
	s_mov_b32 s37, 0x800ff
	;; [unrolled: 1-line block ×3, first 2 shown]
	v_mov_b32_e32 v2, v0
.LBB21_2:                               ; =>This Inner Loop Header: Depth=1
	v_sub_u32_e32 v5, 0, v2
	v_max_i32_e32 v5, v2, v5
	v_mul_hi_u32 v6, v5, v1
	v_mul_lo_u32 v7, v6, s33
	v_sub_u32_e32 v5, v5, v7
	v_add_u32_e32 v12, 1, v6
	v_cmp_le_u32_e32 vcc, s33, v5
	v_subrev_u32_e32 v7, s33, v5
	v_cndmask_b32_e32 v6, v6, v12, vcc
	v_cndmask_b32_e32 v5, v5, v7, vcc
	v_ashrrev_i32_e32 v4, 31, v2
	v_add_u32_e32 v7, 1, v6
	v_cmp_le_u32_e32 vcc, s33, v5
	v_xor_b32_e32 v4, s19, v4
	v_cndmask_b32_e32 v5, v6, v7, vcc
	v_xor_b32_e32 v5, v5, v4
	v_sub_u32_e32 v5, v5, v4
	v_mul_lo_u32 v4, v5, s14
	v_mad_u64_u32 v[6:7], s[0:1], s35, v5, v[2:3]
	v_ashrrev_i32_e32 v5, 31, v4
	v_lshlrev_b64 v[4:5], 1, v[4:5]
	v_ashrrev_i32_e32 v7, 31, v6
	v_add_co_u32_e32 v14, vcc, s31, v4
	v_lshlrev_b64 v[6:7], 1, v[6:7]
	v_addc_co_u32_e32 v15, vcc, v3, v5, vcc
	v_add_co_u32_e32 v4, vcc, s15, v6
	v_addc_co_u32_e32 v5, vcc, v8, v7, vcc
	v_add_co_u32_e32 v12, vcc, s28, v6
	v_addc_co_u32_e32 v13, vcc, v9, v7, vcc
	global_load_ushort v16, v[4:5], off
	global_load_ushort v17, v[12:13], off
	v_add_co_u32_e32 v4, vcc, v14, v6
	v_addc_co_u32_e32 v5, vcc, v15, v7, vcc
	v_add_co_u32_e32 v6, vcc, s26, v4
	v_addc_co_u32_e32 v7, vcc, v5, v10, vcc
	global_load_ushort v12, v[4:5], off
	global_load_ushort v13, v[6:7], off
	v_add_u32_e32 v2, s34, v2
	v_cmp_le_i32_e32 vcc, s12, v2
	s_or_b64 s[24:25], vcc, s[24:25]
	s_waitcnt vmcnt(3)
	v_lshrrev_b16_e32 v14, 8, v16
	v_and_b32_e32 v15, 0xff, v16
	s_waitcnt vmcnt(2)
	v_lshrrev_b16_e32 v16, 8, v17
	v_and_b32_e32 v17, 0xff, v17
	v_lshlrev_b32_e32 v17, 16, v17
	v_lshlrev_b32_e32 v15, 16, v15
	s_waitcnt vmcnt(1)
	v_lshrrev_b16_e32 v18, 8, v12
	v_and_b32_e32 v12, 0xff, v12
	s_waitcnt vmcnt(0)
	v_and_b32_e32 v20, 0xff, v13
	v_lshrrev_b16_e32 v19, 8, v13
	v_lshlrev_b32_e32 v21, 16, v12
	v_lshl_or_b32 v13, v14, 24, v15
	v_lshl_or_b32 v12, v16, 24, v17
	v_lshlrev_b32_e32 v15, 16, v20
	v_lshl_or_b32 v14, v18, 24, v21
	v_mov_b32_e32 v16, v13
	v_mov_b32_e32 v17, v12
	v_lshl_or_b32 v15, v19, 24, v15
	v_pk_mul_f32 v[16:17], v[16:17], v[14:15]
	v_pk_mul_f32 v[12:13], v[12:13], v[14:15]
	v_bfe_u32 v14, v16, 16, 1
	v_bfe_u32 v15, v17, 16, 1
	;; [unrolled: 1-line block ×4, first 2 shown]
	v_add3_u32 v15, v17, v15, s27
	v_add3_u32 v14, v16, v14, s27
	;; [unrolled: 1-line block ×4, first 2 shown]
	v_lshrrev_b32_e32 v14, 16, v14
	v_lshrrev_b32_e32 v15, 16, v15
	v_cmp_o_f32_e32 vcc, v17, v17
	v_cmp_o_f32_e64 s[8:9], v16, v16
	v_lshrrev_b32_e32 v17, 16, v18
	v_lshrrev_b32_e32 v18, 16, v19
	v_cmp_o_f32_e64 s[0:1], v12, v12
	v_cmp_o_f32_e64 s[2:3], v13, v13
	v_cndmask_b32_e64 v12, v11, v14, s[8:9]
	v_cndmask_b32_e32 v13, v11, v15, vcc
	v_cndmask_b32_e64 v14, v11, v17, s[0:1]
	v_cndmask_b32_e64 v15, v11, v18, s[2:3]
	v_perm_b32 v12, v13, v12, s36
	v_perm_b32 v13, v15, v14, s36
	v_and_b32_e32 v14, 0xff, v12
	v_pk_lshrrev_b16 v15, s37, v12
	v_pk_lshrrev_b16 v16, s38, v12
	v_and_b32_e32 v12, 0xff0000, v12
	v_and_b32_e32 v18, 0xff0000, v13
	v_and_b32_e32 v19, 0xff, v13
	v_and_b32_e32 v12, 0xffff0000, v12
	v_lshlrev_b32_e32 v14, 16, v14
	v_pk_lshrrev_b16 v17, s38, v13
	v_pk_lshrrev_b16 v13, s37, v13
	v_lshlrev_b32_e32 v19, 16, v19
	v_and_b32_e32 v18, 0xffff0000, v18
	v_lshl_or_b32 v12, v15, 8, v12
	v_lshl_or_b32 v14, v16, 24, v14
	;; [unrolled: 1-line block ×4, first 2 shown]
	v_sub_f32_e32 v12, v14, v12
	v_add_f32_e32 v13, v13, v15
	v_bfe_u32 v14, v12, 16, 1
	v_bfe_u32 v15, v13, 16, 1
	v_add3_u32 v14, v12, v14, s27
	v_add3_u32 v15, v13, v15, s27
	v_lshrrev_b32_e32 v14, 16, v14
	v_cmp_o_f32_e64 s[0:1], v12, v12
	v_lshrrev_b32_e32 v15, 16, v15
	v_cmp_o_f32_e32 vcc, v13, v13
	v_cndmask_b32_e64 v12, v11, v14, s[0:1]
	v_cndmask_b32_e32 v13, v11, v15, vcc
	global_store_short v[4:5], v12, off
	global_store_short v[6:7], v13, off
	s_andn2_b64 exec, exec, s[24:25]
	s_cbranch_execnz .LBB21_2
.LBB21_3:
	s_or_b64 exec, exec, s[22:23]
	s_mul_i32 s12, s18, s13
	v_cmp_gt_i32_e32 vcc, s12, v0
	s_and_saveexec_b64 s[0:1], vcc
	s_cbranch_execz .LBB21_6
; %bb.4:
	s_lshl_b64 s[0:1], s[20:21], 1
	s_add_u32 s2, s16, s0
	s_addc_u32 s3, s17, s1
	s_mul_i32 s0, s6, s11
	s_mul_hi_u32 s1, s6, s10
	s_add_i32 s0, s1, s0
	s_mul_i32 s1, s7, s10
	s_add_i32 s1, s0, s1
	s_mul_i32 s0, s6, s10
	s_lshl_b64 s[0:1], s[0:1], 1
	s_add_u32 s10, s2, s0
	s_addc_u32 s0, s3, s1
	s_abs_i32 s11, s18
	v_cvt_f32_u32_e32 v1, s11
	s_load_dword s1, s[4:5], 0x64
	s_ashr_i32 s19, s18, 31
	s_lshl_b64 s[8:9], s[18:19], 1
	v_rcp_iflag_f32_e32 v1, v1
	s_sub_i32 s16, 0, s18
	s_waitcnt lgkmcnt(0)
	s_and_b32 s13, s1, 0xffff
	s_sub_i32 s1, 0, s11
	v_mul_f32_e32 v1, 0x4f7ffffe, v1
	v_cvt_u32_f32_e32 v1, v1
	s_mov_b64 s[6:7], 0
	v_mov_b32_e32 v6, s0
	v_mov_b32_e32 v7, s29
	v_mul_lo_u32 v2, s1, v1
	v_mul_hi_u32 v2, v1, v2
	v_add_u32_e32 v1, v1, v2
	v_mov_b32_e32 v8, s30
	v_mov_b32_e32 v9, s9
	s_movk_i32 s9, 0x7fff
	v_mov_b32_e32 v10, 0x7fc0
	s_mov_b32 s17, 0x5040100
	s_mov_b32 s18, 0x800ff
	;; [unrolled: 1-line block ×3, first 2 shown]
.LBB21_5:                               ; =>This Inner Loop Header: Depth=1
	v_sub_u32_e32 v3, 0, v0
	v_max_i32_e32 v3, v0, v3
	v_mul_hi_u32 v4, v3, v1
	v_mul_lo_u32 v5, v4, s11
	v_sub_u32_e32 v3, v3, v5
	v_add_u32_e32 v11, 1, v4
	v_cmp_le_u32_e32 vcc, s11, v3
	v_subrev_u32_e32 v5, s11, v3
	v_cndmask_b32_e32 v4, v4, v11, vcc
	v_cndmask_b32_e32 v3, v3, v5, vcc
	v_ashrrev_i32_e32 v2, 31, v0
	v_add_u32_e32 v5, 1, v4
	v_cmp_le_u32_e32 vcc, s11, v3
	v_xor_b32_e32 v2, s19, v2
	v_cndmask_b32_e32 v3, v4, v5, vcc
	v_xor_b32_e32 v3, v3, v2
	v_sub_u32_e32 v3, v3, v2
	v_mul_lo_u32 v2, v3, s14
	v_mad_u64_u32 v[4:5], s[0:1], s16, v3, v[0:1]
	v_ashrrev_i32_e32 v3, 31, v2
	v_lshlrev_b64 v[2:3], 1, v[2:3]
	v_ashrrev_i32_e32 v5, 31, v4
	v_add_co_u32_e32 v11, vcc, s10, v2
	v_lshlrev_b64 v[4:5], 1, v[4:5]
	v_addc_co_u32_e32 v14, vcc, v6, v3, vcc
	v_add_co_u32_e32 v2, vcc, s15, v4
	v_addc_co_u32_e32 v3, vcc, v7, v5, vcc
	v_add_co_u32_e32 v12, vcc, s28, v4
	v_addc_co_u32_e32 v13, vcc, v8, v5, vcc
	global_load_ushort v15, v[2:3], off
	global_load_ushort v16, v[12:13], off
	v_add_co_u32_e32 v2, vcc, v11, v4
	v_addc_co_u32_e32 v3, vcc, v14, v5, vcc
	v_add_co_u32_e32 v4, vcc, s8, v2
	v_addc_co_u32_e32 v5, vcc, v3, v9, vcc
	global_load_ushort v11, v[2:3], off
	global_load_ushort v12, v[4:5], off
	v_add_u32_e32 v0, s13, v0
	v_cmp_le_i32_e32 vcc, s12, v0
	s_or_b64 s[6:7], vcc, s[6:7]
	s_waitcnt vmcnt(3)
	v_lshrrev_b16_e32 v13, 8, v15
	v_and_b32_e32 v14, 0xff, v15
	s_waitcnt vmcnt(2)
	v_lshrrev_b16_e32 v15, 8, v16
	v_and_b32_e32 v16, 0xff, v16
	v_lshlrev_b32_e32 v16, 16, v16
	v_lshlrev_b32_e32 v14, 16, v14
	v_lshl_or_b32 v13, v13, 24, v14
	s_waitcnt vmcnt(1)
	v_lshrrev_b16_e32 v17, 8, v11
	v_and_b32_e32 v11, 0xff, v11
	s_waitcnt vmcnt(0)
	v_and_b32_e32 v19, 0xff, v12
	v_lshrrev_b16_e32 v18, 8, v12
	v_lshlrev_b32_e32 v11, 16, v11
	v_lshl_or_b32 v12, v15, 24, v16
	v_lshlrev_b32_e32 v15, 16, v19
	v_lshl_or_b32 v14, v17, 24, v11
	v_mov_b32_e32 v16, v13
	v_mov_b32_e32 v17, v12
	v_lshl_or_b32 v15, v18, 24, v15
	v_pk_mul_f32 v[16:17], v[16:17], v[14:15]
	v_pk_mul_f32 v[12:13], v[12:13], v[14:15]
	v_bfe_u32 v11, v16, 16, 1
	v_bfe_u32 v14, v17, 16, 1
	;; [unrolled: 1-line block ×4, first 2 shown]
	v_add3_u32 v14, v17, v14, s9
	v_add3_u32 v11, v16, v11, s9
	;; [unrolled: 1-line block ×4, first 2 shown]
	v_lshrrev_b32_e32 v11, 16, v11
	v_lshrrev_b32_e32 v14, 16, v14
	v_cmp_o_f32_e32 vcc, v17, v17
	v_cmp_o_f32_e64 s[4:5], v16, v16
	v_lshrrev_b32_e32 v15, 16, v15
	v_lshrrev_b32_e32 v17, 16, v18
	v_cmp_o_f32_e64 s[0:1], v12, v12
	v_cmp_o_f32_e64 s[2:3], v13, v13
	v_cndmask_b32_e64 v11, v10, v11, s[4:5]
	v_cndmask_b32_e32 v12, v10, v14, vcc
	v_cndmask_b32_e64 v13, v10, v15, s[0:1]
	v_cndmask_b32_e64 v14, v10, v17, s[2:3]
	v_perm_b32 v11, v12, v11, s17
	v_perm_b32 v12, v14, v13, s17
	v_and_b32_e32 v13, 0xff, v11
	v_pk_lshrrev_b16 v14, s18, v11
	v_pk_lshrrev_b16 v15, s20, v11
	v_and_b32_e32 v11, 0xff0000, v11
	v_and_b32_e32 v17, 0xff0000, v12
	;; [unrolled: 1-line block ×4, first 2 shown]
	v_lshlrev_b32_e32 v13, 16, v13
	v_pk_lshrrev_b16 v16, s20, v12
	v_pk_lshrrev_b16 v12, s18, v12
	v_lshlrev_b32_e32 v18, 16, v18
	v_and_b32_e32 v17, 0xffff0000, v17
	v_lshl_or_b32 v11, v14, 8, v11
	v_lshl_or_b32 v13, v15, 24, v13
	;; [unrolled: 1-line block ×4, first 2 shown]
	v_sub_f32_e32 v11, v13, v11
	v_add_f32_e32 v12, v12, v14
	v_bfe_u32 v13, v11, 16, 1
	v_bfe_u32 v14, v12, 16, 1
	v_add3_u32 v13, v11, v13, s9
	v_add3_u32 v14, v12, v14, s9
	v_lshrrev_b32_e32 v13, 16, v13
	v_cmp_o_f32_e64 s[0:1], v11, v11
	v_lshrrev_b32_e32 v14, 16, v14
	v_cmp_o_f32_e32 vcc, v12, v12
	v_cndmask_b32_e64 v11, v10, v13, s[0:1]
	v_cndmask_b32_e32 v12, v10, v14, vcc
	global_store_short v[2:3], v11, off
	global_store_short v[4:5], v12, off
	s_andn2_b64 exec, exec, s[6:7]
	s_cbranch_execnz .LBB21_5
.LBB21_6:
	s_endpgm
	.section	.rodata,"a",@progbits
	.p2align	6, 0x0
	.amdhsa_kernel _ZN4vllm31batched_rotary_embedding_kernelIN3c108BFloat16ELb1ELb1EEEvPKlPT_S6_PKS5_S8_S4_illiii
		.amdhsa_group_segment_fixed_size 0
		.amdhsa_private_segment_fixed_size 0
		.amdhsa_kernarg_size 344
		.amdhsa_user_sgpr_count 6
		.amdhsa_user_sgpr_private_segment_buffer 1
		.amdhsa_user_sgpr_dispatch_ptr 0
		.amdhsa_user_sgpr_queue_ptr 0
		.amdhsa_user_sgpr_kernarg_segment_ptr 1
		.amdhsa_user_sgpr_dispatch_id 0
		.amdhsa_user_sgpr_flat_scratch_init 0
		.amdhsa_user_sgpr_kernarg_preload_length 0
		.amdhsa_user_sgpr_kernarg_preload_offset 0
		.amdhsa_user_sgpr_private_segment_size 0
		.amdhsa_uses_dynamic_stack 0
		.amdhsa_system_sgpr_private_segment_wavefront_offset 0
		.amdhsa_system_sgpr_workgroup_id_x 1
		.amdhsa_system_sgpr_workgroup_id_y 0
		.amdhsa_system_sgpr_workgroup_id_z 0
		.amdhsa_system_sgpr_workgroup_info 0
		.amdhsa_system_vgpr_workitem_id 0
		.amdhsa_next_free_vgpr 22
		.amdhsa_next_free_sgpr 39
		.amdhsa_accum_offset 24
		.amdhsa_reserve_vcc 1
		.amdhsa_reserve_flat_scratch 0
		.amdhsa_float_round_mode_32 0
		.amdhsa_float_round_mode_16_64 0
		.amdhsa_float_denorm_mode_32 3
		.amdhsa_float_denorm_mode_16_64 3
		.amdhsa_dx10_clamp 1
		.amdhsa_ieee_mode 1
		.amdhsa_fp16_overflow 0
		.amdhsa_tg_split 0
		.amdhsa_exception_fp_ieee_invalid_op 0
		.amdhsa_exception_fp_denorm_src 0
		.amdhsa_exception_fp_ieee_div_zero 0
		.amdhsa_exception_fp_ieee_overflow 0
		.amdhsa_exception_fp_ieee_underflow 0
		.amdhsa_exception_fp_ieee_inexact 0
		.amdhsa_exception_int_div_zero 0
	.end_amdhsa_kernel
	.section	.text._ZN4vllm31batched_rotary_embedding_kernelIN3c108BFloat16ELb1ELb1EEEvPKlPT_S6_PKS5_S8_S4_illiii,"axG",@progbits,_ZN4vllm31batched_rotary_embedding_kernelIN3c108BFloat16ELb1ELb1EEEvPKlPT_S6_PKS5_S8_S4_illiii,comdat
.Lfunc_end21:
	.size	_ZN4vllm31batched_rotary_embedding_kernelIN3c108BFloat16ELb1ELb1EEEvPKlPT_S6_PKS5_S8_S4_illiii, .Lfunc_end21-_ZN4vllm31batched_rotary_embedding_kernelIN3c108BFloat16ELb1ELb1EEEvPKlPT_S6_PKS5_S8_S4_illiii
                                        ; -- End function
	.section	.AMDGPU.csdata,"",@progbits
; Kernel info:
; codeLenInByte = 1996
; NumSgprs: 43
; NumVgprs: 22
; NumAgprs: 0
; TotalNumVgprs: 22
; ScratchSize: 0
; MemoryBound: 0
; FloatMode: 240
; IeeeMode: 1
; LDSByteSize: 0 bytes/workgroup (compile time only)
; SGPRBlocks: 5
; VGPRBlocks: 2
; NumSGPRsForWavesPerEU: 43
; NumVGPRsForWavesPerEU: 22
; AccumOffset: 24
; Occupancy: 8
; WaveLimiterHint : 1
; COMPUTE_PGM_RSRC2:SCRATCH_EN: 0
; COMPUTE_PGM_RSRC2:USER_SGPR: 6
; COMPUTE_PGM_RSRC2:TRAP_HANDLER: 0
; COMPUTE_PGM_RSRC2:TGID_X_EN: 1
; COMPUTE_PGM_RSRC2:TGID_Y_EN: 0
; COMPUTE_PGM_RSRC2:TGID_Z_EN: 0
; COMPUTE_PGM_RSRC2:TIDIG_COMP_CNT: 0
; COMPUTE_PGM_RSRC3_GFX90A:ACCUM_OFFSET: 5
; COMPUTE_PGM_RSRC3_GFX90A:TG_SPLIT: 0
	.section	.text._ZN4vllm31batched_rotary_embedding_kernelIN3c108BFloat16ELb1ELb0EEEvPKlPT_S6_PKS5_S8_S4_illiii,"axG",@progbits,_ZN4vllm31batched_rotary_embedding_kernelIN3c108BFloat16ELb1ELb0EEEvPKlPT_S6_PKS5_S8_S4_illiii,comdat
	.protected	_ZN4vllm31batched_rotary_embedding_kernelIN3c108BFloat16ELb1ELb0EEEvPKlPT_S6_PKS5_S8_S4_illiii ; -- Begin function _ZN4vllm31batched_rotary_embedding_kernelIN3c108BFloat16ELb1ELb0EEEvPKlPT_S6_PKS5_S8_S4_illiii
	.globl	_ZN4vllm31batched_rotary_embedding_kernelIN3c108BFloat16ELb1ELb0EEEvPKlPT_S6_PKS5_S8_S4_illiii
	.p2align	8
	.type	_ZN4vllm31batched_rotary_embedding_kernelIN3c108BFloat16ELb1ELb0EEEvPKlPT_S6_PKS5_S8_S4_illiii,@function
_ZN4vllm31batched_rotary_embedding_kernelIN3c108BFloat16ELb1ELb0EEEvPKlPT_S6_PKS5_S8_S4_illiii: ; @_ZN4vllm31batched_rotary_embedding_kernelIN3c108BFloat16ELb1ELb0EEEvPKlPT_S6_PKS5_S8_S4_illiii
; %bb.0:
	s_load_dword s24, s[4:5], 0x30
	s_load_dwordx2 s[0:1], s[4:5], 0x0
	s_load_dwordx8 s[16:23], s[4:5], 0x10
	s_ashr_i32 s7, s6, 31
	s_lshl_b64 s[2:3], s[6:7], 3
	s_waitcnt lgkmcnt(0)
	s_ashr_i32 s25, s24, 31
	s_add_u32 s0, s0, s2
	s_addc_u32 s1, s1, s3
	s_add_u32 s2, s22, s2
	s_load_dwordx2 s[0:1], s[0:1], 0x0
	s_addc_u32 s3, s23, s3
	s_load_dwordx2 s[22:23], s[2:3], 0x0
	s_load_dwordx8 s[8:15], s[4:5], 0x38
	s_waitcnt lgkmcnt(0)
	s_add_u32 s0, s22, s0
	s_addc_u32 s1, s23, s1
	s_mul_i32 s2, s0, s25
	s_mul_hi_u32 s3, s0, s24
	s_add_i32 s2, s3, s2
	s_mul_i32 s1, s1, s24
	s_add_i32 s2, s2, s1
	s_mul_i32 s0, s0, s24
	s_lshr_b32 s1, s2, 31
	s_add_u32 s0, s0, s1
	s_addc_u32 s1, s2, 0
	s_and_b32 s0, s0, -2
	s_add_u32 s15, s18, s0
	s_addc_u32 s27, s19, s1
	s_add_u32 s26, s20, s0
	s_addc_u32 s28, s21, s1
	s_lshr_b32 s0, s24, 31
	s_add_i32 s24, s24, s0
	s_ashr_i32 s18, s24, 1
	s_mul_i32 s12, s18, s12
	v_cmp_gt_i32_e32 vcc, s12, v0
	s_and_saveexec_b64 s[20:21], vcc
	s_cbranch_execz .LBB22_3
; %bb.1:
	s_mul_i32 s0, s6, s9
	s_mul_hi_u32 s1, s6, s8
	s_add_i32 s2, s1, s0
	s_load_dwordx2 s[0:1], s[4:5], 0x8
	s_mul_i32 s3, s7, s8
	s_add_i32 s3, s2, s3
	s_mul_i32 s2, s6, s8
	s_load_dword s8, s[4:5], 0x64
	s_lshl_b64 s[2:3], s[2:3], 1
	s_waitcnt lgkmcnt(0)
	s_add_u32 s29, s0, s2
	s_addc_u32 s0, s1, s3
	s_abs_i32 s30, s18
	v_cvt_f32_u32_e32 v1, s30
	s_sub_i32 s1, 0, s30
	s_ashr_i32 s19, s18, 31
	s_lshl_b64 s[24:25], s[18:19], 1
	v_rcp_iflag_f32_e32 v1, v1
	s_and_b32 s31, s8, 0xffff
	s_sub_i32 s33, 0, s18
	s_mov_b64 s[22:23], 0
	v_mul_f32_e32 v1, 0x4f7ffffe, v1
	v_cvt_u32_f32_e32 v1, v1
	v_mov_b32_e32 v3, s0
	v_mov_b32_e32 v8, s27
	;; [unrolled: 1-line block ×3, first 2 shown]
	v_mul_lo_u32 v2, s1, v1
	v_mul_hi_u32 v2, v1, v2
	v_add_u32_e32 v1, v1, v2
	v_mov_b32_e32 v10, s25
	s_movk_i32 s25, 0x7fff
	v_mov_b32_e32 v11, 0x7fc0
	s_mov_b32 s34, 0x5040100
	s_mov_b32 s35, 0x800ff
	s_mov_b32 s36, 0xff0008
	v_mov_b32_e32 v2, v0
.LBB22_2:                               ; =>This Inner Loop Header: Depth=1
	v_sub_u32_e32 v5, 0, v2
	v_max_i32_e32 v5, v2, v5
	v_mul_hi_u32 v6, v5, v1
	v_mul_lo_u32 v7, v6, s30
	v_sub_u32_e32 v5, v5, v7
	v_add_u32_e32 v12, 1, v6
	v_cmp_le_u32_e32 vcc, s30, v5
	v_subrev_u32_e32 v7, s30, v5
	v_cndmask_b32_e32 v6, v6, v12, vcc
	v_cndmask_b32_e32 v5, v5, v7, vcc
	v_ashrrev_i32_e32 v4, 31, v2
	v_add_u32_e32 v7, 1, v6
	v_cmp_le_u32_e32 vcc, s30, v5
	v_xor_b32_e32 v4, s19, v4
	v_cndmask_b32_e32 v5, v6, v7, vcc
	v_xor_b32_e32 v5, v5, v4
	v_sub_u32_e32 v5, v5, v4
	v_mul_lo_u32 v4, v5, s14
	v_mad_u64_u32 v[6:7], s[0:1], s33, v5, v[2:3]
	v_ashrrev_i32_e32 v5, 31, v4
	v_lshlrev_b64 v[4:5], 1, v[4:5]
	v_ashrrev_i32_e32 v7, 31, v6
	v_add_co_u32_e32 v14, vcc, s29, v4
	v_lshlrev_b64 v[6:7], 1, v[6:7]
	v_addc_co_u32_e32 v15, vcc, v3, v5, vcc
	v_add_co_u32_e32 v4, vcc, s15, v6
	v_addc_co_u32_e32 v5, vcc, v8, v7, vcc
	v_add_co_u32_e32 v12, vcc, s26, v6
	v_addc_co_u32_e32 v13, vcc, v9, v7, vcc
	global_load_ushort v16, v[4:5], off
	global_load_ushort v17, v[12:13], off
	v_add_co_u32_e32 v4, vcc, v14, v6
	v_addc_co_u32_e32 v5, vcc, v15, v7, vcc
	v_add_co_u32_e32 v6, vcc, s24, v4
	v_addc_co_u32_e32 v7, vcc, v5, v10, vcc
	global_load_ushort v12, v[4:5], off
	global_load_ushort v13, v[6:7], off
	v_add_u32_e32 v2, s31, v2
	v_cmp_le_i32_e32 vcc, s12, v2
	s_or_b64 s[22:23], vcc, s[22:23]
	s_waitcnt vmcnt(3)
	v_lshrrev_b16_e32 v14, 8, v16
	v_and_b32_e32 v15, 0xff, v16
	s_waitcnt vmcnt(2)
	v_lshrrev_b16_e32 v16, 8, v17
	v_and_b32_e32 v17, 0xff, v17
	v_lshlrev_b32_e32 v17, 16, v17
	v_lshlrev_b32_e32 v15, 16, v15
	s_waitcnt vmcnt(1)
	v_lshrrev_b16_e32 v18, 8, v12
	v_and_b32_e32 v12, 0xff, v12
	s_waitcnt vmcnt(0)
	v_and_b32_e32 v20, 0xff, v13
	v_lshrrev_b16_e32 v19, 8, v13
	v_lshlrev_b32_e32 v21, 16, v12
	v_lshl_or_b32 v13, v14, 24, v15
	v_lshl_or_b32 v12, v16, 24, v17
	v_lshlrev_b32_e32 v15, 16, v20
	v_lshl_or_b32 v14, v18, 24, v21
	v_mov_b32_e32 v16, v13
	v_mov_b32_e32 v17, v12
	v_lshl_or_b32 v15, v19, 24, v15
	v_pk_mul_f32 v[16:17], v[16:17], v[14:15]
	v_pk_mul_f32 v[12:13], v[12:13], v[14:15]
	v_bfe_u32 v14, v16, 16, 1
	v_bfe_u32 v15, v17, 16, 1
	v_bfe_u32 v18, v12, 16, 1
	v_bfe_u32 v19, v13, 16, 1
	v_add3_u32 v15, v17, v15, s25
	v_add3_u32 v14, v16, v14, s25
	;; [unrolled: 1-line block ×4, first 2 shown]
	v_lshrrev_b32_e32 v14, 16, v14
	v_lshrrev_b32_e32 v15, 16, v15
	v_cmp_o_f32_e32 vcc, v17, v17
	v_cmp_o_f32_e64 s[8:9], v16, v16
	v_lshrrev_b32_e32 v17, 16, v18
	v_lshrrev_b32_e32 v18, 16, v19
	v_cmp_o_f32_e64 s[0:1], v12, v12
	v_cmp_o_f32_e64 s[2:3], v13, v13
	v_cndmask_b32_e64 v12, v11, v14, s[8:9]
	v_cndmask_b32_e32 v13, v11, v15, vcc
	v_cndmask_b32_e64 v14, v11, v17, s[0:1]
	v_cndmask_b32_e64 v15, v11, v18, s[2:3]
	v_perm_b32 v12, v13, v12, s34
	v_perm_b32 v13, v15, v14, s34
	v_and_b32_e32 v14, 0xff, v12
	v_pk_lshrrev_b16 v15, s35, v12
	v_pk_lshrrev_b16 v16, s36, v12
	v_and_b32_e32 v12, 0xff0000, v12
	v_and_b32_e32 v18, 0xff0000, v13
	;; [unrolled: 1-line block ×4, first 2 shown]
	v_lshlrev_b32_e32 v14, 16, v14
	v_pk_lshrrev_b16 v17, s36, v13
	v_pk_lshrrev_b16 v13, s35, v13
	v_lshlrev_b32_e32 v19, 16, v19
	v_and_b32_e32 v18, 0xffff0000, v18
	v_lshl_or_b32 v12, v15, 8, v12
	v_lshl_or_b32 v14, v16, 24, v14
	;; [unrolled: 1-line block ×4, first 2 shown]
	v_sub_f32_e32 v12, v14, v12
	v_add_f32_e32 v13, v13, v15
	v_bfe_u32 v14, v12, 16, 1
	v_bfe_u32 v15, v13, 16, 1
	v_add3_u32 v14, v12, v14, s25
	v_add3_u32 v15, v13, v15, s25
	v_lshrrev_b32_e32 v14, 16, v14
	v_cmp_o_f32_e64 s[0:1], v12, v12
	v_lshrrev_b32_e32 v15, 16, v15
	v_cmp_o_f32_e32 vcc, v13, v13
	v_cndmask_b32_e64 v12, v11, v14, s[0:1]
	v_cndmask_b32_e32 v13, v11, v15, vcc
	global_store_short v[4:5], v12, off
	global_store_short v[6:7], v13, off
	s_andn2_b64 exec, exec, s[22:23]
	s_cbranch_execnz .LBB22_2
.LBB22_3:
	s_or_b64 exec, exec, s[20:21]
	s_mul_i32 s12, s18, s13
	v_cmp_gt_i32_e32 vcc, s12, v0
	s_and_saveexec_b64 s[0:1], vcc
	s_cbranch_execz .LBB22_6
; %bb.4:
	s_mul_i32 s0, s6, s11
	s_mul_hi_u32 s1, s6, s10
	s_add_i32 s0, s1, s0
	s_mul_i32 s1, s7, s10
	s_add_i32 s1, s0, s1
	s_mul_i32 s0, s6, s10
	s_lshl_b64 s[0:1], s[0:1], 1
	s_add_u32 s10, s16, s0
	s_addc_u32 s0, s17, s1
	s_abs_i32 s11, s18
	v_cvt_f32_u32_e32 v1, s11
	s_load_dword s1, s[4:5], 0x64
	s_ashr_i32 s19, s18, 31
	s_lshl_b64 s[8:9], s[18:19], 1
	v_rcp_iflag_f32_e32 v1, v1
	s_sub_i32 s16, 0, s18
	s_waitcnt lgkmcnt(0)
	s_and_b32 s13, s1, 0xffff
	s_sub_i32 s1, 0, s11
	v_mul_f32_e32 v1, 0x4f7ffffe, v1
	v_cvt_u32_f32_e32 v1, v1
	s_mov_b64 s[6:7], 0
	v_mov_b32_e32 v6, s0
	v_mov_b32_e32 v7, s27
	v_mul_lo_u32 v2, s1, v1
	v_mul_hi_u32 v2, v1, v2
	v_add_u32_e32 v1, v1, v2
	v_mov_b32_e32 v8, s28
	v_mov_b32_e32 v9, s9
	s_movk_i32 s9, 0x7fff
	v_mov_b32_e32 v10, 0x7fc0
	s_mov_b32 s17, 0x5040100
	s_mov_b32 s18, 0x800ff
	;; [unrolled: 1-line block ×3, first 2 shown]
.LBB22_5:                               ; =>This Inner Loop Header: Depth=1
	v_sub_u32_e32 v3, 0, v0
	v_max_i32_e32 v3, v0, v3
	v_mul_hi_u32 v4, v3, v1
	v_mul_lo_u32 v5, v4, s11
	v_sub_u32_e32 v3, v3, v5
	v_add_u32_e32 v11, 1, v4
	v_cmp_le_u32_e32 vcc, s11, v3
	v_subrev_u32_e32 v5, s11, v3
	v_cndmask_b32_e32 v4, v4, v11, vcc
	v_cndmask_b32_e32 v3, v3, v5, vcc
	v_ashrrev_i32_e32 v2, 31, v0
	v_add_u32_e32 v5, 1, v4
	v_cmp_le_u32_e32 vcc, s11, v3
	v_xor_b32_e32 v2, s19, v2
	v_cndmask_b32_e32 v3, v4, v5, vcc
	v_xor_b32_e32 v3, v3, v2
	v_sub_u32_e32 v3, v3, v2
	v_mul_lo_u32 v2, v3, s14
	v_mad_u64_u32 v[4:5], s[0:1], s16, v3, v[0:1]
	v_ashrrev_i32_e32 v3, 31, v2
	v_lshlrev_b64 v[2:3], 1, v[2:3]
	v_ashrrev_i32_e32 v5, 31, v4
	v_add_co_u32_e32 v11, vcc, s10, v2
	v_lshlrev_b64 v[4:5], 1, v[4:5]
	v_addc_co_u32_e32 v14, vcc, v6, v3, vcc
	v_add_co_u32_e32 v2, vcc, s15, v4
	v_addc_co_u32_e32 v3, vcc, v7, v5, vcc
	v_add_co_u32_e32 v12, vcc, s26, v4
	v_addc_co_u32_e32 v13, vcc, v8, v5, vcc
	global_load_ushort v15, v[2:3], off
	global_load_ushort v16, v[12:13], off
	v_add_co_u32_e32 v2, vcc, v11, v4
	v_addc_co_u32_e32 v3, vcc, v14, v5, vcc
	v_add_co_u32_e32 v4, vcc, s8, v2
	v_addc_co_u32_e32 v5, vcc, v3, v9, vcc
	global_load_ushort v11, v[2:3], off
	global_load_ushort v12, v[4:5], off
	v_add_u32_e32 v0, s13, v0
	v_cmp_le_i32_e32 vcc, s12, v0
	s_or_b64 s[6:7], vcc, s[6:7]
	s_waitcnt vmcnt(3)
	v_lshrrev_b16_e32 v13, 8, v15
	v_and_b32_e32 v14, 0xff, v15
	s_waitcnt vmcnt(2)
	v_lshrrev_b16_e32 v15, 8, v16
	v_and_b32_e32 v16, 0xff, v16
	v_lshlrev_b32_e32 v16, 16, v16
	v_lshlrev_b32_e32 v14, 16, v14
	v_lshl_or_b32 v13, v13, 24, v14
	s_waitcnt vmcnt(1)
	v_lshrrev_b16_e32 v17, 8, v11
	v_and_b32_e32 v11, 0xff, v11
	s_waitcnt vmcnt(0)
	v_and_b32_e32 v19, 0xff, v12
	v_lshrrev_b16_e32 v18, 8, v12
	v_lshlrev_b32_e32 v11, 16, v11
	v_lshl_or_b32 v12, v15, 24, v16
	v_lshlrev_b32_e32 v15, 16, v19
	v_lshl_or_b32 v14, v17, 24, v11
	v_mov_b32_e32 v16, v13
	v_mov_b32_e32 v17, v12
	v_lshl_or_b32 v15, v18, 24, v15
	v_pk_mul_f32 v[16:17], v[16:17], v[14:15]
	v_pk_mul_f32 v[12:13], v[12:13], v[14:15]
	v_bfe_u32 v11, v16, 16, 1
	v_bfe_u32 v14, v17, 16, 1
	;; [unrolled: 1-line block ×4, first 2 shown]
	v_add3_u32 v14, v17, v14, s9
	v_add3_u32 v11, v16, v11, s9
	;; [unrolled: 1-line block ×4, first 2 shown]
	v_lshrrev_b32_e32 v11, 16, v11
	v_lshrrev_b32_e32 v14, 16, v14
	v_cmp_o_f32_e32 vcc, v17, v17
	v_cmp_o_f32_e64 s[4:5], v16, v16
	v_lshrrev_b32_e32 v15, 16, v15
	v_lshrrev_b32_e32 v17, 16, v18
	v_cmp_o_f32_e64 s[0:1], v12, v12
	v_cmp_o_f32_e64 s[2:3], v13, v13
	v_cndmask_b32_e64 v11, v10, v11, s[4:5]
	v_cndmask_b32_e32 v12, v10, v14, vcc
	v_cndmask_b32_e64 v13, v10, v15, s[0:1]
	v_cndmask_b32_e64 v14, v10, v17, s[2:3]
	v_perm_b32 v11, v12, v11, s17
	v_perm_b32 v12, v14, v13, s17
	v_and_b32_e32 v13, 0xff, v11
	v_pk_lshrrev_b16 v14, s18, v11
	v_pk_lshrrev_b16 v15, s20, v11
	v_and_b32_e32 v11, 0xff0000, v11
	v_and_b32_e32 v17, 0xff0000, v12
	;; [unrolled: 1-line block ×4, first 2 shown]
	v_lshlrev_b32_e32 v13, 16, v13
	v_pk_lshrrev_b16 v16, s20, v12
	v_pk_lshrrev_b16 v12, s18, v12
	v_lshlrev_b32_e32 v18, 16, v18
	v_and_b32_e32 v17, 0xffff0000, v17
	v_lshl_or_b32 v11, v14, 8, v11
	v_lshl_or_b32 v13, v15, 24, v13
	;; [unrolled: 1-line block ×4, first 2 shown]
	v_sub_f32_e32 v11, v13, v11
	v_add_f32_e32 v12, v12, v14
	v_bfe_u32 v13, v11, 16, 1
	v_bfe_u32 v14, v12, 16, 1
	v_add3_u32 v13, v11, v13, s9
	v_add3_u32 v14, v12, v14, s9
	v_lshrrev_b32_e32 v13, 16, v13
	v_cmp_o_f32_e64 s[0:1], v11, v11
	v_lshrrev_b32_e32 v14, 16, v14
	v_cmp_o_f32_e32 vcc, v12, v12
	v_cndmask_b32_e64 v11, v10, v13, s[0:1]
	v_cndmask_b32_e32 v12, v10, v14, vcc
	global_store_short v[2:3], v11, off
	global_store_short v[4:5], v12, off
	s_andn2_b64 exec, exec, s[6:7]
	s_cbranch_execnz .LBB22_5
.LBB22_6:
	s_endpgm
	.section	.rodata,"a",@progbits
	.p2align	6, 0x0
	.amdhsa_kernel _ZN4vllm31batched_rotary_embedding_kernelIN3c108BFloat16ELb1ELb0EEEvPKlPT_S6_PKS5_S8_S4_illiii
		.amdhsa_group_segment_fixed_size 0
		.amdhsa_private_segment_fixed_size 0
		.amdhsa_kernarg_size 344
		.amdhsa_user_sgpr_count 6
		.amdhsa_user_sgpr_private_segment_buffer 1
		.amdhsa_user_sgpr_dispatch_ptr 0
		.amdhsa_user_sgpr_queue_ptr 0
		.amdhsa_user_sgpr_kernarg_segment_ptr 1
		.amdhsa_user_sgpr_dispatch_id 0
		.amdhsa_user_sgpr_flat_scratch_init 0
		.amdhsa_user_sgpr_kernarg_preload_length 0
		.amdhsa_user_sgpr_kernarg_preload_offset 0
		.amdhsa_user_sgpr_private_segment_size 0
		.amdhsa_uses_dynamic_stack 0
		.amdhsa_system_sgpr_private_segment_wavefront_offset 0
		.amdhsa_system_sgpr_workgroup_id_x 1
		.amdhsa_system_sgpr_workgroup_id_y 0
		.amdhsa_system_sgpr_workgroup_id_z 0
		.amdhsa_system_sgpr_workgroup_info 0
		.amdhsa_system_vgpr_workitem_id 0
		.amdhsa_next_free_vgpr 22
		.amdhsa_next_free_sgpr 37
		.amdhsa_accum_offset 24
		.amdhsa_reserve_vcc 1
		.amdhsa_reserve_flat_scratch 0
		.amdhsa_float_round_mode_32 0
		.amdhsa_float_round_mode_16_64 0
		.amdhsa_float_denorm_mode_32 3
		.amdhsa_float_denorm_mode_16_64 3
		.amdhsa_dx10_clamp 1
		.amdhsa_ieee_mode 1
		.amdhsa_fp16_overflow 0
		.amdhsa_tg_split 0
		.amdhsa_exception_fp_ieee_invalid_op 0
		.amdhsa_exception_fp_denorm_src 0
		.amdhsa_exception_fp_ieee_div_zero 0
		.amdhsa_exception_fp_ieee_overflow 0
		.amdhsa_exception_fp_ieee_underflow 0
		.amdhsa_exception_fp_ieee_inexact 0
		.amdhsa_exception_int_div_zero 0
	.end_amdhsa_kernel
	.section	.text._ZN4vllm31batched_rotary_embedding_kernelIN3c108BFloat16ELb1ELb0EEEvPKlPT_S6_PKS5_S8_S4_illiii,"axG",@progbits,_ZN4vllm31batched_rotary_embedding_kernelIN3c108BFloat16ELb1ELb0EEEvPKlPT_S6_PKS5_S8_S4_illiii,comdat
.Lfunc_end22:
	.size	_ZN4vllm31batched_rotary_embedding_kernelIN3c108BFloat16ELb1ELb0EEEvPKlPT_S6_PKS5_S8_S4_illiii, .Lfunc_end22-_ZN4vllm31batched_rotary_embedding_kernelIN3c108BFloat16ELb1ELb0EEEvPKlPT_S6_PKS5_S8_S4_illiii
                                        ; -- End function
	.section	.AMDGPU.csdata,"",@progbits
; Kernel info:
; codeLenInByte = 1964
; NumSgprs: 41
; NumVgprs: 22
; NumAgprs: 0
; TotalNumVgprs: 22
; ScratchSize: 0
; MemoryBound: 0
; FloatMode: 240
; IeeeMode: 1
; LDSByteSize: 0 bytes/workgroup (compile time only)
; SGPRBlocks: 5
; VGPRBlocks: 2
; NumSGPRsForWavesPerEU: 41
; NumVGPRsForWavesPerEU: 22
; AccumOffset: 24
; Occupancy: 8
; WaveLimiterHint : 1
; COMPUTE_PGM_RSRC2:SCRATCH_EN: 0
; COMPUTE_PGM_RSRC2:USER_SGPR: 6
; COMPUTE_PGM_RSRC2:TRAP_HANDLER: 0
; COMPUTE_PGM_RSRC2:TGID_X_EN: 1
; COMPUTE_PGM_RSRC2:TGID_Y_EN: 0
; COMPUTE_PGM_RSRC2:TGID_Z_EN: 0
; COMPUTE_PGM_RSRC2:TIDIG_COMP_CNT: 0
; COMPUTE_PGM_RSRC3_GFX90A:ACCUM_OFFSET: 5
; COMPUTE_PGM_RSRC3_GFX90A:TG_SPLIT: 0
	.section	.text._ZN4vllm31batched_rotary_embedding_kernelIN3c108BFloat16ELb0ELb1EEEvPKlPT_S6_PKS5_S8_S4_illiii,"axG",@progbits,_ZN4vllm31batched_rotary_embedding_kernelIN3c108BFloat16ELb0ELb1EEEvPKlPT_S6_PKS5_S8_S4_illiii,comdat
	.protected	_ZN4vllm31batched_rotary_embedding_kernelIN3c108BFloat16ELb0ELb1EEEvPKlPT_S6_PKS5_S8_S4_illiii ; -- Begin function _ZN4vllm31batched_rotary_embedding_kernelIN3c108BFloat16ELb0ELb1EEEvPKlPT_S6_PKS5_S8_S4_illiii
	.globl	_ZN4vllm31batched_rotary_embedding_kernelIN3c108BFloat16ELb0ELb1EEEvPKlPT_S6_PKS5_S8_S4_illiii
	.p2align	8
	.type	_ZN4vllm31batched_rotary_embedding_kernelIN3c108BFloat16ELb0ELb1EEEvPKlPT_S6_PKS5_S8_S4_illiii,@function
_ZN4vllm31batched_rotary_embedding_kernelIN3c108BFloat16ELb0ELb1EEEvPKlPT_S6_PKS5_S8_S4_illiii: ; @_ZN4vllm31batched_rotary_embedding_kernelIN3c108BFloat16ELb0ELb1EEEvPKlPT_S6_PKS5_S8_S4_illiii
; %bb.0:
	s_load_dword s24, s[4:5], 0x30
	s_load_dwordx2 s[0:1], s[4:5], 0x0
	s_load_dwordx8 s[16:23], s[4:5], 0x10
	s_ashr_i32 s7, s6, 31
	s_lshl_b64 s[2:3], s[6:7], 3
	s_waitcnt lgkmcnt(0)
	s_ashr_i32 s25, s24, 31
	s_add_u32 s0, s0, s2
	s_addc_u32 s1, s1, s3
	s_add_u32 s2, s22, s2
	s_load_dwordx2 s[0:1], s[0:1], 0x0
	s_addc_u32 s3, s23, s3
	s_load_dwordx2 s[22:23], s[2:3], 0x0
	s_load_dwordx8 s[8:15], s[4:5], 0x38
	v_lshlrev_b32_e32 v2, 1, v0
	s_waitcnt lgkmcnt(0)
	s_add_u32 s0, s22, s0
	s_addc_u32 s1, s23, s1
	s_mul_i32 s2, s0, s25
	s_mul_hi_u32 s3, s0, s24
	s_add_i32 s2, s3, s2
	s_mul_i32 s1, s1, s24
	s_add_i32 s2, s2, s1
	s_mul_i32 s0, s0, s24
	s_lshr_b32 s1, s2, 31
	s_add_u32 s0, s0, s1
	s_addc_u32 s1, s2, 0
	s_and_b32 s0, s0, -2
	s_add_u32 s15, s18, s0
	s_addc_u32 s22, s19, s1
	s_add_u32 s20, s20, s0
	s_addc_u32 s21, s21, s1
	s_lshr_b32 s0, s24, 31
	s_add_i32 s0, s24, s0
	s_ashr_i32 s23, s0, 1
	s_mul_i32 s12, s23, s12
	s_sub_i32 s2, s14, s24
	s_ashr_i32 s3, s2, 31
	v_cmp_gt_i32_e32 vcc, s12, v0
	s_and_saveexec_b64 s[18:19], vcc
	s_cbranch_execz .LBB23_3
; %bb.1:
	s_load_dwordx2 s[0:1], s[4:5], 0x8
	s_load_dword s27, s[4:5], 0x64
	s_lshl_b64 s[24:25], s[2:3], 1
	s_mul_i32 s9, s6, s9
	s_mul_hi_u32 s26, s6, s8
	s_waitcnt lgkmcnt(0)
	s_add_u32 s24, s0, s24
	s_addc_u32 s25, s1, s25
	s_add_i32 s0, s26, s9
	s_mul_i32 s1, s7, s8
	s_add_i32 s1, s0, s1
	s_mul_i32 s0, s6, s8
	s_lshl_b64 s[0:1], s[0:1], 1
	s_add_u32 s24, s24, s0
	s_addc_u32 s0, s25, s1
	s_abs_i32 s25, s23
	v_cvt_f32_u32_e32 v1, s25
	s_sub_i32 s8, 0, s25
	s_and_b32 s26, s27, 0xffff
	s_lshl_b32 s1, s23, 1
	v_rcp_iflag_f32_e32 v1, v1
	s_ashr_i32 s27, s23, 31
	s_sub_i32 s28, 0, s1
	v_lshlrev_b32_e32 v4, 1, v0
	v_mul_f32_e32 v1, 0x4f7ffffe, v1
	v_cvt_u32_f32_e32 v1, v1
	s_lshl_b32 s29, s26, 1
	s_sub_i32 s30, 0, s23
	v_mov_b32_e32 v5, s22
	v_mul_lo_u32 v3, s8, v1
	v_mul_hi_u32 v3, v1, v3
	v_add_u32_e32 v1, v1, v3
	s_mov_b64 s[8:9], 0
	v_mov_b32_e32 v3, s0
	v_mov_b32_e32 v7, s21
	s_movk_i32 s31, 0xff
	s_mov_b32 s33, 0xff000000
	s_movk_i32 s34, 0x7fff
	v_mov_b32_e32 v10, 0x7fc0
	s_mov_b32 s35, 0x5040100
	s_mov_b32 s36, 0x800ff
	;; [unrolled: 1-line block ×3, first 2 shown]
	v_mov_b32_e32 v6, v0
.LBB23_2:                               ; =>This Inner Loop Header: Depth=1
	v_sub_u32_e32 v9, 0, v6
	v_max_i32_e32 v9, v6, v9
	v_mul_hi_u32 v11, v9, v1
	v_mul_lo_u32 v12, v11, s25
	v_sub_u32_e32 v9, v9, v12
	v_add_u32_e32 v13, 1, v11
	v_cmp_le_u32_e32 vcc, s25, v9
	v_subrev_u32_e32 v12, s25, v9
	v_cndmask_b32_e32 v11, v11, v13, vcc
	v_cndmask_b32_e32 v9, v9, v12, vcc
	v_ashrrev_i32_e32 v8, 31, v6
	v_add_u32_e32 v12, 1, v11
	v_cmp_le_u32_e32 vcc, s25, v9
	v_xor_b32_e32 v8, s27, v8
	v_cndmask_b32_e32 v9, v11, v12, vcc
	v_xor_b32_e32 v9, v9, v8
	v_sub_u32_e32 v9, v9, v8
	v_mul_lo_u32 v8, v9, s14
	v_mad_u64_u32 v[12:13], s[0:1], s30, v9, v[6:7]
	v_mad_u64_u32 v[14:15], s[0:1], s28, v9, v[4:5]
	v_ashrrev_i32_e32 v9, 31, v8
	v_lshlrev_b64 v[8:9], 1, v[8:9]
	v_ashrrev_i32_e32 v13, 31, v12
	v_add_co_u32_e32 v11, vcc, s24, v8
	v_lshlrev_b64 v[12:13], 1, v[12:13]
	v_addc_co_u32_e32 v16, vcc, v3, v9, vcc
	v_add_co_u32_e32 v8, vcc, s15, v12
	v_addc_co_u32_e32 v9, vcc, v5, v13, vcc
	v_ashrrev_i32_e32 v15, 31, v14
	v_add_co_u32_e32 v12, vcc, s20, v12
	v_lshlrev_b64 v[14:15], 1, v[14:15]
	v_addc_co_u32_e32 v13, vcc, v7, v13, vcc
	global_load_ushort v17, v[8:9], off
	global_load_ushort v18, v[12:13], off
	v_add_co_u32_e32 v8, vcc, v11, v14
	v_addc_co_u32_e32 v9, vcc, v16, v15, vcc
	global_load_dword v11, v[8:9], off
	v_add_u32_e32 v6, s26, v6
	v_cmp_le_i32_e32 vcc, s12, v6
	s_or_b64 s[8:9], vcc, s[8:9]
	v_add_u32_e32 v4, s29, v4
	s_waitcnt vmcnt(2)
	v_and_b32_e32 v13, 0xff, v17
	s_waitcnt vmcnt(1)
	v_and_b32_e32 v15, 0xff, v18
	v_lshrrev_b16_e32 v12, 8, v17
	v_lshrrev_b16_e32 v14, 8, v18
	v_lshlrev_b32_e32 v13, 16, v13
	v_lshlrev_b32_e32 v15, 16, v15
	s_waitcnt vmcnt(0)
	v_and_b32_e32 v17, 0xff, v11
	v_and_b32_sdwa v18, v11, s31 dst_sel:DWORD dst_unused:UNUSED_PAD src0_sel:WORD_1 src1_sel:DWORD
	v_lshrrev_b16_e32 v16, 8, v11
	v_lshlrev_b32_e32 v17, 16, v17
	v_lshl_or_b32 v12, v12, 24, v13
	v_lshlrev_b32_e32 v13, 16, v18
	v_lshl_or_b32 v15, v14, 24, v15
	v_lshl_or_b32 v14, v16, 24, v17
	v_and_or_b32 v16, v11, s33, v13
	v_mov_b32_e32 v18, v15
	v_mov_b32_e32 v19, v12
	;; [unrolled: 1-line block ×3, first 2 shown]
	v_pk_mul_f32 v[16:17], v[18:19], v[16:17] op_sel_hi:[1,0]
	v_pk_mul_f32 v[12:13], v[12:13], v[14:15]
	v_bfe_u32 v11, v16, 16, 1
	v_bfe_u32 v14, v17, 16, 1
	v_add3_u32 v14, v17, v14, s34
	v_add3_u32 v11, v16, v11, s34
	v_bfe_u32 v15, v12, 16, 1
	v_bfe_u32 v18, v13, 16, 1
	v_lshrrev_b32_e32 v11, 16, v11
	v_lshrrev_b32_e32 v14, 16, v14
	v_cmp_o_f32_e32 vcc, v17, v17
	v_add3_u32 v17, v13, v18, s34
	v_add3_u32 v15, v12, v15, s34
	v_cmp_o_f32_e64 s[0:1], v16, v16
	v_cndmask_b32_e64 v11, v10, v11, s[0:1]
	v_cndmask_b32_e32 v14, v10, v14, vcc
	v_lshrrev_b32_e32 v15, 16, v15
	v_lshrrev_b32_e32 v16, 16, v17
	v_cmp_o_f32_e32 vcc, v13, v13
	v_cmp_o_f32_e64 s[0:1], v12, v12
	v_perm_b32 v11, v14, v11, s35
	v_cndmask_b32_e64 v12, v10, v15, s[0:1]
	v_cndmask_b32_e32 v13, v10, v16, vcc
	v_perm_b32 v12, v13, v12, s35
	v_and_b32_e32 v13, 0xff, v11
	v_pk_lshrrev_b16 v14, s36, v11
	v_pk_lshrrev_b16 v15, s37, v11
	v_and_b32_e32 v11, 0xff0000, v11
	v_and_b32_e32 v11, 0xffff0000, v11
	;; [unrolled: 1-line block ×4, first 2 shown]
	v_lshlrev_b32_e32 v16, 16, v13
	v_pk_lshrrev_b16 v18, s36, v12
	v_pk_lshrrev_b16 v19, s37, v12
	v_lshl_or_b32 v13, v14, 8, v11
	v_and_b32_e32 v11, 0xffff0000, v20
	v_lshlrev_b32_e32 v14, 16, v17
	v_lshl_or_b32 v12, v15, 24, v16
	v_lshl_or_b32 v15, v18, 8, v11
	;; [unrolled: 1-line block ×3, first 2 shown]
	v_pk_add_f32 v[16:17], v[14:15], v[12:13] neg_lo:[0,1] neg_hi:[0,1]
	v_pk_add_f32 v[12:13], v[14:15], v[12:13]
	v_bfe_u32 v11, v16, 16, 1
	v_bfe_u32 v12, v13, 16, 1
	v_add3_u32 v12, v13, v12, s34
	v_add3_u32 v11, v16, v11, s34
	v_lshrrev_b32_e32 v11, 16, v11
	v_lshrrev_b32_e32 v12, 16, v12
	v_cmp_o_f32_e32 vcc, v13, v13
	v_cmp_o_f32_e64 s[0:1], v16, v16
	v_cndmask_b32_e64 v11, v10, v11, s[0:1]
	v_cndmask_b32_e32 v12, v10, v12, vcc
	v_perm_b32 v11, v12, v11, s35
	global_store_dword v[8:9], v11, off
	s_andn2_b64 exec, exec, s[8:9]
	s_cbranch_execnz .LBB23_2
.LBB23_3:
	s_or_b64 exec, exec, s[18:19]
	s_mul_i32 s8, s23, s13
	v_cmp_gt_i32_e32 vcc, s8, v0
	s_and_saveexec_b64 s[0:1], vcc
	s_cbranch_execz .LBB23_6
; %bb.4:
	s_lshl_b64 s[0:1], s[2:3], 1
	s_add_u32 s2, s16, s0
	s_addc_u32 s3, s17, s1
	s_mul_i32 s0, s6, s11
	s_mul_hi_u32 s1, s6, s10
	s_add_i32 s0, s1, s0
	s_mul_i32 s1, s7, s10
	s_add_i32 s1, s0, s1
	s_mul_i32 s0, s6, s10
	s_lshl_b64 s[0:1], s[0:1], 1
	s_add_u32 s6, s2, s0
	s_addc_u32 s0, s3, s1
	s_abs_i32 s7, s23
	v_cvt_f32_u32_e32 v1, s7
	s_load_dword s1, s[4:5], 0x64
	s_ashr_i32 s5, s23, 31
	s_sub_i32 s11, 0, s23
	v_rcp_iflag_f32_e32 v1, v1
	s_mov_b64 s[2:3], 0
	s_waitcnt lgkmcnt(0)
	s_and_b32 s4, s1, 0xffff
	s_sub_i32 s1, 0, s7
	v_mul_f32_e32 v1, 0x4f7ffffe, v1
	v_cvt_u32_f32_e32 v1, v1
	s_lshl_b32 s10, s4, 1
	v_mov_b32_e32 v6, s22
	v_mov_b32_e32 v7, s21
	v_mul_lo_u32 v3, s1, v1
	v_mul_hi_u32 v3, v1, v3
	s_lshl_b32 s1, s23, 1
	v_add_u32_e32 v1, v1, v3
	s_sub_i32 s9, 0, s1
	v_mov_b32_e32 v3, s0
	s_movk_i32 s12, 0xff
	s_mov_b32 s13, 0xff000000
	s_movk_i32 s16, 0x7fff
	v_mov_b32_e32 v8, 0x7fc0
	s_mov_b32 s17, 0x5040100
	s_mov_b32 s18, 0x800ff
	;; [unrolled: 1-line block ×3, first 2 shown]
.LBB23_5:                               ; =>This Inner Loop Header: Depth=1
	v_sub_u32_e32 v5, 0, v0
	v_max_i32_e32 v5, v0, v5
	v_mul_hi_u32 v9, v5, v1
	v_mul_lo_u32 v10, v9, s7
	v_sub_u32_e32 v5, v5, v10
	v_add_u32_e32 v11, 1, v9
	v_cmp_le_u32_e32 vcc, s7, v5
	v_subrev_u32_e32 v10, s7, v5
	v_cndmask_b32_e32 v9, v9, v11, vcc
	v_cndmask_b32_e32 v5, v5, v10, vcc
	v_ashrrev_i32_e32 v4, 31, v0
	v_add_u32_e32 v10, 1, v9
	v_cmp_le_u32_e32 vcc, s7, v5
	v_xor_b32_e32 v4, s5, v4
	v_cndmask_b32_e32 v5, v9, v10, vcc
	v_xor_b32_e32 v5, v5, v4
	v_sub_u32_e32 v5, v5, v4
	v_mul_lo_u32 v4, v5, s14
	v_mad_u64_u32 v[10:11], s[0:1], s11, v5, v[0:1]
	v_mad_u64_u32 v[12:13], s[0:1], s9, v5, v[2:3]
	v_ashrrev_i32_e32 v5, 31, v4
	v_lshlrev_b64 v[4:5], 1, v[4:5]
	v_ashrrev_i32_e32 v11, 31, v10
	v_add_co_u32_e32 v9, vcc, s6, v4
	v_lshlrev_b64 v[10:11], 1, v[10:11]
	v_addc_co_u32_e32 v14, vcc, v3, v5, vcc
	v_add_co_u32_e32 v4, vcc, s15, v10
	v_addc_co_u32_e32 v5, vcc, v6, v11, vcc
	v_ashrrev_i32_e32 v13, 31, v12
	v_add_co_u32_e32 v10, vcc, s20, v10
	v_lshlrev_b64 v[12:13], 1, v[12:13]
	v_addc_co_u32_e32 v11, vcc, v7, v11, vcc
	global_load_ushort v15, v[4:5], off
	global_load_ushort v16, v[10:11], off
	v_add_co_u32_e32 v4, vcc, v9, v12
	v_addc_co_u32_e32 v5, vcc, v14, v13, vcc
	global_load_dword v9, v[4:5], off
	v_add_u32_e32 v0, s4, v0
	v_cmp_le_i32_e32 vcc, s8, v0
	s_or_b64 s[2:3], vcc, s[2:3]
	v_add_u32_e32 v2, s10, v2
	s_waitcnt vmcnt(2)
	v_and_b32_e32 v11, 0xff, v15
	s_waitcnt vmcnt(1)
	v_and_b32_e32 v13, 0xff, v16
	v_lshrrev_b16_e32 v10, 8, v15
	v_lshrrev_b16_e32 v12, 8, v16
	v_lshlrev_b32_e32 v11, 16, v11
	v_lshlrev_b32_e32 v13, 16, v13
	s_waitcnt vmcnt(0)
	v_and_b32_e32 v15, 0xff, v9
	v_and_b32_sdwa v16, v9, s12 dst_sel:DWORD dst_unused:UNUSED_PAD src0_sel:WORD_1 src1_sel:DWORD
	v_lshrrev_b16_e32 v14, 8, v9
	v_lshlrev_b32_e32 v15, 16, v15
	v_lshl_or_b32 v10, v10, 24, v11
	v_lshlrev_b32_e32 v11, 16, v16
	v_lshl_or_b32 v13, v12, 24, v13
	v_lshl_or_b32 v12, v14, 24, v15
	v_and_or_b32 v14, v9, s13, v11
	v_mov_b32_e32 v16, v13
	v_mov_b32_e32 v17, v10
	;; [unrolled: 1-line block ×3, first 2 shown]
	v_pk_mul_f32 v[14:15], v[16:17], v[14:15] op_sel_hi:[1,0]
	v_pk_mul_f32 v[10:11], v[10:11], v[12:13]
	v_bfe_u32 v9, v14, 16, 1
	v_bfe_u32 v12, v15, 16, 1
	v_add3_u32 v12, v15, v12, s16
	v_add3_u32 v9, v14, v9, s16
	v_bfe_u32 v13, v10, 16, 1
	v_bfe_u32 v16, v11, 16, 1
	v_lshrrev_b32_e32 v9, 16, v9
	v_lshrrev_b32_e32 v12, 16, v12
	v_cmp_o_f32_e32 vcc, v15, v15
	v_add3_u32 v15, v11, v16, s16
	v_add3_u32 v13, v10, v13, s16
	v_cmp_o_f32_e64 s[0:1], v14, v14
	v_cndmask_b32_e64 v9, v8, v9, s[0:1]
	v_cndmask_b32_e32 v12, v8, v12, vcc
	v_lshrrev_b32_e32 v13, 16, v13
	v_lshrrev_b32_e32 v14, 16, v15
	v_cmp_o_f32_e32 vcc, v11, v11
	v_cmp_o_f32_e64 s[0:1], v10, v10
	v_perm_b32 v9, v12, v9, s17
	v_cndmask_b32_e64 v10, v8, v13, s[0:1]
	v_cndmask_b32_e32 v11, v8, v14, vcc
	v_perm_b32 v10, v11, v10, s17
	v_and_b32_e32 v11, 0xff, v9
	v_pk_lshrrev_b16 v12, s18, v9
	v_pk_lshrrev_b16 v13, s19, v9
	v_and_b32_e32 v9, 0xff0000, v9
	v_and_b32_e32 v9, 0xffff0000, v9
	;; [unrolled: 1-line block ×4, first 2 shown]
	v_lshlrev_b32_e32 v14, 16, v11
	v_pk_lshrrev_b16 v16, s18, v10
	v_pk_lshrrev_b16 v17, s19, v10
	v_lshl_or_b32 v11, v12, 8, v9
	v_and_b32_e32 v9, 0xffff0000, v18
	v_lshlrev_b32_e32 v12, 16, v15
	v_lshl_or_b32 v10, v13, 24, v14
	v_lshl_or_b32 v13, v16, 8, v9
	;; [unrolled: 1-line block ×3, first 2 shown]
	v_pk_add_f32 v[14:15], v[12:13], v[10:11] neg_lo:[0,1] neg_hi:[0,1]
	v_pk_add_f32 v[10:11], v[12:13], v[10:11]
	v_bfe_u32 v9, v14, 16, 1
	v_bfe_u32 v10, v11, 16, 1
	v_add3_u32 v10, v11, v10, s16
	v_add3_u32 v9, v14, v9, s16
	v_lshrrev_b32_e32 v9, 16, v9
	v_lshrrev_b32_e32 v10, 16, v10
	v_cmp_o_f32_e32 vcc, v11, v11
	v_cmp_o_f32_e64 s[0:1], v14, v14
	v_cndmask_b32_e64 v9, v8, v9, s[0:1]
	v_cndmask_b32_e32 v10, v8, v10, vcc
	v_perm_b32 v9, v10, v9, s17
	global_store_dword v[4:5], v9, off
	s_andn2_b64 exec, exec, s[2:3]
	s_cbranch_execnz .LBB23_5
.LBB23_6:
	s_endpgm
	.section	.rodata,"a",@progbits
	.p2align	6, 0x0
	.amdhsa_kernel _ZN4vllm31batched_rotary_embedding_kernelIN3c108BFloat16ELb0ELb1EEEvPKlPT_S6_PKS5_S8_S4_illiii
		.amdhsa_group_segment_fixed_size 0
		.amdhsa_private_segment_fixed_size 0
		.amdhsa_kernarg_size 344
		.amdhsa_user_sgpr_count 6
		.amdhsa_user_sgpr_private_segment_buffer 1
		.amdhsa_user_sgpr_dispatch_ptr 0
		.amdhsa_user_sgpr_queue_ptr 0
		.amdhsa_user_sgpr_kernarg_segment_ptr 1
		.amdhsa_user_sgpr_dispatch_id 0
		.amdhsa_user_sgpr_flat_scratch_init 0
		.amdhsa_user_sgpr_kernarg_preload_length 0
		.amdhsa_user_sgpr_kernarg_preload_offset 0
		.amdhsa_user_sgpr_private_segment_size 0
		.amdhsa_uses_dynamic_stack 0
		.amdhsa_system_sgpr_private_segment_wavefront_offset 0
		.amdhsa_system_sgpr_workgroup_id_x 1
		.amdhsa_system_sgpr_workgroup_id_y 0
		.amdhsa_system_sgpr_workgroup_id_z 0
		.amdhsa_system_sgpr_workgroup_info 0
		.amdhsa_system_vgpr_workitem_id 0
		.amdhsa_next_free_vgpr 21
		.amdhsa_next_free_sgpr 38
		.amdhsa_accum_offset 24
		.amdhsa_reserve_vcc 1
		.amdhsa_reserve_flat_scratch 0
		.amdhsa_float_round_mode_32 0
		.amdhsa_float_round_mode_16_64 0
		.amdhsa_float_denorm_mode_32 3
		.amdhsa_float_denorm_mode_16_64 3
		.amdhsa_dx10_clamp 1
		.amdhsa_ieee_mode 1
		.amdhsa_fp16_overflow 0
		.amdhsa_tg_split 0
		.amdhsa_exception_fp_ieee_invalid_op 0
		.amdhsa_exception_fp_denorm_src 0
		.amdhsa_exception_fp_ieee_div_zero 0
		.amdhsa_exception_fp_ieee_overflow 0
		.amdhsa_exception_fp_ieee_underflow 0
		.amdhsa_exception_fp_ieee_inexact 0
		.amdhsa_exception_int_div_zero 0
	.end_amdhsa_kernel
	.section	.text._ZN4vllm31batched_rotary_embedding_kernelIN3c108BFloat16ELb0ELb1EEEvPKlPT_S6_PKS5_S8_S4_illiii,"axG",@progbits,_ZN4vllm31batched_rotary_embedding_kernelIN3c108BFloat16ELb0ELb1EEEvPKlPT_S6_PKS5_S8_S4_illiii,comdat
.Lfunc_end23:
	.size	_ZN4vllm31batched_rotary_embedding_kernelIN3c108BFloat16ELb0ELb1EEEvPKlPT_S6_PKS5_S8_S4_illiii, .Lfunc_end23-_ZN4vllm31batched_rotary_embedding_kernelIN3c108BFloat16ELb0ELb1EEEvPKlPT_S6_PKS5_S8_S4_illiii
                                        ; -- End function
	.section	.AMDGPU.csdata,"",@progbits
; Kernel info:
; codeLenInByte = 2044
; NumSgprs: 42
; NumVgprs: 21
; NumAgprs: 0
; TotalNumVgprs: 21
; ScratchSize: 0
; MemoryBound: 0
; FloatMode: 240
; IeeeMode: 1
; LDSByteSize: 0 bytes/workgroup (compile time only)
; SGPRBlocks: 5
; VGPRBlocks: 2
; NumSGPRsForWavesPerEU: 42
; NumVGPRsForWavesPerEU: 21
; AccumOffset: 24
; Occupancy: 8
; WaveLimiterHint : 1
; COMPUTE_PGM_RSRC2:SCRATCH_EN: 0
; COMPUTE_PGM_RSRC2:USER_SGPR: 6
; COMPUTE_PGM_RSRC2:TRAP_HANDLER: 0
; COMPUTE_PGM_RSRC2:TGID_X_EN: 1
; COMPUTE_PGM_RSRC2:TGID_Y_EN: 0
; COMPUTE_PGM_RSRC2:TGID_Z_EN: 0
; COMPUTE_PGM_RSRC2:TIDIG_COMP_CNT: 0
; COMPUTE_PGM_RSRC3_GFX90A:ACCUM_OFFSET: 5
; COMPUTE_PGM_RSRC3_GFX90A:TG_SPLIT: 0
	.section	.text._ZN4vllm31batched_rotary_embedding_kernelIN3c108BFloat16ELb0ELb0EEEvPKlPT_S6_PKS5_S8_S4_illiii,"axG",@progbits,_ZN4vllm31batched_rotary_embedding_kernelIN3c108BFloat16ELb0ELb0EEEvPKlPT_S6_PKS5_S8_S4_illiii,comdat
	.protected	_ZN4vllm31batched_rotary_embedding_kernelIN3c108BFloat16ELb0ELb0EEEvPKlPT_S6_PKS5_S8_S4_illiii ; -- Begin function _ZN4vllm31batched_rotary_embedding_kernelIN3c108BFloat16ELb0ELb0EEEvPKlPT_S6_PKS5_S8_S4_illiii
	.globl	_ZN4vllm31batched_rotary_embedding_kernelIN3c108BFloat16ELb0ELb0EEEvPKlPT_S6_PKS5_S8_S4_illiii
	.p2align	8
	.type	_ZN4vllm31batched_rotary_embedding_kernelIN3c108BFloat16ELb0ELb0EEEvPKlPT_S6_PKS5_S8_S4_illiii,@function
_ZN4vllm31batched_rotary_embedding_kernelIN3c108BFloat16ELb0ELb0EEEvPKlPT_S6_PKS5_S8_S4_illiii: ; @_ZN4vllm31batched_rotary_embedding_kernelIN3c108BFloat16ELb0ELb0EEEvPKlPT_S6_PKS5_S8_S4_illiii
; %bb.0:
	s_load_dword s24, s[4:5], 0x30
	s_load_dwordx2 s[0:1], s[4:5], 0x0
	s_load_dwordx8 s[16:23], s[4:5], 0x10
	s_ashr_i32 s7, s6, 31
	s_lshl_b64 s[2:3], s[6:7], 3
	s_waitcnt lgkmcnt(0)
	s_ashr_i32 s25, s24, 31
	s_add_u32 s0, s0, s2
	s_addc_u32 s1, s1, s3
	s_add_u32 s2, s22, s2
	s_load_dwordx2 s[0:1], s[0:1], 0x0
	s_addc_u32 s3, s23, s3
	s_load_dwordx2 s[22:23], s[2:3], 0x0
	s_load_dwordx8 s[8:15], s[4:5], 0x38
	v_lshlrev_b32_e32 v2, 1, v0
	s_waitcnt lgkmcnt(0)
	s_add_u32 s0, s22, s0
	s_addc_u32 s1, s23, s1
	s_mul_i32 s2, s0, s25
	s_mul_hi_u32 s3, s0, s24
	s_add_i32 s2, s3, s2
	s_mul_i32 s1, s1, s24
	s_add_i32 s2, s2, s1
	s_mul_i32 s0, s0, s24
	s_lshr_b32 s1, s2, 31
	s_add_u32 s0, s0, s1
	s_addc_u32 s1, s2, 0
	s_and_b32 s0, s0, -2
	s_add_u32 s15, s18, s0
	s_addc_u32 s19, s19, s1
	s_add_u32 s18, s20, s0
	s_addc_u32 s20, s21, s1
	s_lshr_b32 s0, s24, 31
	s_add_i32 s24, s24, s0
	s_ashr_i32 s21, s24, 1
	s_mul_i32 s12, s21, s12
	v_cmp_gt_i32_e32 vcc, s12, v0
	s_and_saveexec_b64 s[2:3], vcc
	s_cbranch_execz .LBB24_3
; %bb.1:
	s_mul_i32 s0, s6, s9
	s_mul_hi_u32 s1, s6, s8
	s_add_i32 s9, s1, s0
	s_load_dwordx2 s[0:1], s[4:5], 0x8
	s_load_dword s24, s[4:5], 0x64
	s_mul_i32 s22, s7, s8
	s_add_i32 s9, s9, s22
	s_mul_i32 s8, s6, s8
	s_lshl_b64 s[8:9], s[8:9], 1
	s_waitcnt lgkmcnt(0)
	s_add_u32 s22, s0, s8
	s_addc_u32 s0, s1, s9
	s_abs_i32 s23, s21
	v_cvt_f32_u32_e32 v1, s23
	s_sub_i32 s8, 0, s23
	s_and_b32 s24, s24, 0xffff
	s_lshl_b32 s1, s21, 1
	v_rcp_iflag_f32_e32 v1, v1
	s_ashr_i32 s25, s21, 31
	s_sub_i32 s26, 0, s1
	v_lshlrev_b32_e32 v4, 1, v0
	v_mul_f32_e32 v1, 0x4f7ffffe, v1
	v_cvt_u32_f32_e32 v1, v1
	s_lshl_b32 s27, s24, 1
	s_sub_i32 s28, 0, s21
	v_mov_b32_e32 v5, s19
	v_mul_lo_u32 v3, s8, v1
	v_mul_hi_u32 v3, v1, v3
	v_add_u32_e32 v1, v1, v3
	s_mov_b64 s[8:9], 0
	v_mov_b32_e32 v3, s0
	v_mov_b32_e32 v7, s20
	s_movk_i32 s29, 0xff
	s_mov_b32 s30, 0xff000000
	s_movk_i32 s31, 0x7fff
	v_mov_b32_e32 v10, 0x7fc0
	s_mov_b32 s33, 0x5040100
	s_mov_b32 s34, 0x800ff
	;; [unrolled: 1-line block ×3, first 2 shown]
	v_mov_b32_e32 v6, v0
.LBB24_2:                               ; =>This Inner Loop Header: Depth=1
	v_sub_u32_e32 v9, 0, v6
	v_max_i32_e32 v9, v6, v9
	v_mul_hi_u32 v11, v9, v1
	v_mul_lo_u32 v12, v11, s23
	v_sub_u32_e32 v9, v9, v12
	v_add_u32_e32 v13, 1, v11
	v_cmp_le_u32_e32 vcc, s23, v9
	v_subrev_u32_e32 v12, s23, v9
	v_cndmask_b32_e32 v11, v11, v13, vcc
	v_cndmask_b32_e32 v9, v9, v12, vcc
	v_ashrrev_i32_e32 v8, 31, v6
	v_add_u32_e32 v12, 1, v11
	v_cmp_le_u32_e32 vcc, s23, v9
	v_xor_b32_e32 v8, s25, v8
	v_cndmask_b32_e32 v9, v11, v12, vcc
	v_xor_b32_e32 v9, v9, v8
	v_sub_u32_e32 v9, v9, v8
	v_mul_lo_u32 v8, v9, s14
	v_mad_u64_u32 v[12:13], s[0:1], s28, v9, v[6:7]
	v_mad_u64_u32 v[14:15], s[0:1], s26, v9, v[4:5]
	v_ashrrev_i32_e32 v9, 31, v8
	v_lshlrev_b64 v[8:9], 1, v[8:9]
	v_ashrrev_i32_e32 v13, 31, v12
	v_add_co_u32_e32 v11, vcc, s22, v8
	v_lshlrev_b64 v[12:13], 1, v[12:13]
	v_addc_co_u32_e32 v16, vcc, v3, v9, vcc
	v_add_co_u32_e32 v8, vcc, s15, v12
	v_addc_co_u32_e32 v9, vcc, v5, v13, vcc
	v_ashrrev_i32_e32 v15, 31, v14
	v_add_co_u32_e32 v12, vcc, s18, v12
	v_lshlrev_b64 v[14:15], 1, v[14:15]
	v_addc_co_u32_e32 v13, vcc, v7, v13, vcc
	global_load_ushort v17, v[8:9], off
	global_load_ushort v18, v[12:13], off
	v_add_co_u32_e32 v8, vcc, v11, v14
	v_addc_co_u32_e32 v9, vcc, v16, v15, vcc
	global_load_dword v11, v[8:9], off
	v_add_u32_e32 v6, s24, v6
	v_cmp_le_i32_e32 vcc, s12, v6
	s_or_b64 s[8:9], vcc, s[8:9]
	v_add_u32_e32 v4, s27, v4
	s_waitcnt vmcnt(2)
	v_and_b32_e32 v13, 0xff, v17
	s_waitcnt vmcnt(1)
	v_and_b32_e32 v15, 0xff, v18
	v_lshrrev_b16_e32 v12, 8, v17
	v_lshrrev_b16_e32 v14, 8, v18
	v_lshlrev_b32_e32 v13, 16, v13
	v_lshlrev_b32_e32 v15, 16, v15
	s_waitcnt vmcnt(0)
	v_and_b32_e32 v17, 0xff, v11
	v_and_b32_sdwa v18, v11, s29 dst_sel:DWORD dst_unused:UNUSED_PAD src0_sel:WORD_1 src1_sel:DWORD
	v_lshrrev_b16_e32 v16, 8, v11
	v_lshlrev_b32_e32 v17, 16, v17
	v_lshl_or_b32 v12, v12, 24, v13
	v_lshlrev_b32_e32 v13, 16, v18
	v_lshl_or_b32 v15, v14, 24, v15
	v_lshl_or_b32 v14, v16, 24, v17
	v_and_or_b32 v16, v11, s30, v13
	v_mov_b32_e32 v18, v15
	v_mov_b32_e32 v19, v12
	;; [unrolled: 1-line block ×3, first 2 shown]
	v_pk_mul_f32 v[16:17], v[18:19], v[16:17] op_sel_hi:[1,0]
	v_pk_mul_f32 v[12:13], v[12:13], v[14:15]
	v_bfe_u32 v11, v16, 16, 1
	v_bfe_u32 v14, v17, 16, 1
	v_add3_u32 v14, v17, v14, s31
	v_add3_u32 v11, v16, v11, s31
	v_bfe_u32 v15, v12, 16, 1
	v_bfe_u32 v18, v13, 16, 1
	v_lshrrev_b32_e32 v11, 16, v11
	v_lshrrev_b32_e32 v14, 16, v14
	v_cmp_o_f32_e32 vcc, v17, v17
	v_add3_u32 v17, v13, v18, s31
	v_add3_u32 v15, v12, v15, s31
	v_cmp_o_f32_e64 s[0:1], v16, v16
	v_cndmask_b32_e64 v11, v10, v11, s[0:1]
	v_cndmask_b32_e32 v14, v10, v14, vcc
	v_lshrrev_b32_e32 v15, 16, v15
	v_lshrrev_b32_e32 v16, 16, v17
	v_cmp_o_f32_e32 vcc, v13, v13
	v_cmp_o_f32_e64 s[0:1], v12, v12
	v_perm_b32 v11, v14, v11, s33
	v_cndmask_b32_e64 v12, v10, v15, s[0:1]
	v_cndmask_b32_e32 v13, v10, v16, vcc
	v_perm_b32 v12, v13, v12, s33
	v_and_b32_e32 v13, 0xff, v11
	v_pk_lshrrev_b16 v14, s34, v11
	v_pk_lshrrev_b16 v15, s35, v11
	v_and_b32_e32 v11, 0xff0000, v11
	v_and_b32_e32 v11, 0xffff0000, v11
	;; [unrolled: 1-line block ×4, first 2 shown]
	v_lshlrev_b32_e32 v16, 16, v13
	v_pk_lshrrev_b16 v18, s34, v12
	v_pk_lshrrev_b16 v19, s35, v12
	v_lshl_or_b32 v13, v14, 8, v11
	v_and_b32_e32 v11, 0xffff0000, v20
	v_lshlrev_b32_e32 v14, 16, v17
	v_lshl_or_b32 v12, v15, 24, v16
	v_lshl_or_b32 v15, v18, 8, v11
	;; [unrolled: 1-line block ×3, first 2 shown]
	v_pk_add_f32 v[16:17], v[14:15], v[12:13] neg_lo:[0,1] neg_hi:[0,1]
	v_pk_add_f32 v[12:13], v[14:15], v[12:13]
	v_bfe_u32 v11, v16, 16, 1
	v_bfe_u32 v12, v13, 16, 1
	v_add3_u32 v12, v13, v12, s31
	v_add3_u32 v11, v16, v11, s31
	v_lshrrev_b32_e32 v11, 16, v11
	v_lshrrev_b32_e32 v12, 16, v12
	v_cmp_o_f32_e32 vcc, v13, v13
	v_cmp_o_f32_e64 s[0:1], v16, v16
	v_cndmask_b32_e64 v11, v10, v11, s[0:1]
	v_cndmask_b32_e32 v12, v10, v12, vcc
	v_perm_b32 v11, v12, v11, s33
	global_store_dword v[8:9], v11, off
	s_andn2_b64 exec, exec, s[8:9]
	s_cbranch_execnz .LBB24_2
.LBB24_3:
	s_or_b64 exec, exec, s[2:3]
	s_mul_i32 s8, s21, s13
	v_cmp_gt_i32_e32 vcc, s8, v0
	s_and_saveexec_b64 s[0:1], vcc
	s_cbranch_execz .LBB24_6
; %bb.4:
	s_mul_i32 s0, s6, s11
	s_mul_hi_u32 s1, s6, s10
	s_add_i32 s0, s1, s0
	s_mul_i32 s1, s7, s10
	s_add_i32 s1, s0, s1
	s_mul_i32 s0, s6, s10
	s_lshl_b64 s[0:1], s[0:1], 1
	s_add_u32 s6, s16, s0
	s_addc_u32 s0, s17, s1
	s_abs_i32 s7, s21
	v_cvt_f32_u32_e32 v1, s7
	s_load_dword s1, s[4:5], 0x64
	s_sub_i32 s2, 0, s7
	s_ashr_i32 s5, s21, 31
	v_rcp_iflag_f32_e32 v1, v1
	s_sub_i32 s11, 0, s21
	s_waitcnt lgkmcnt(0)
	s_and_b32 s4, s1, 0xffff
	s_lshl_b32 s1, s21, 1
	v_mul_f32_e32 v1, 0x4f7ffffe, v1
	v_cvt_u32_f32_e32 v1, v1
	s_sub_i32 s9, 0, s1
	s_lshl_b32 s10, s4, 1
	v_mov_b32_e32 v6, s19
	v_mul_lo_u32 v3, s2, v1
	v_mul_hi_u32 v3, v1, v3
	v_add_u32_e32 v1, v1, v3
	s_mov_b64 s[2:3], 0
	v_mov_b32_e32 v3, s0
	v_mov_b32_e32 v7, s20
	s_movk_i32 s12, 0xff
	s_mov_b32 s13, 0xff000000
	s_movk_i32 s16, 0x7fff
	v_mov_b32_e32 v8, 0x7fc0
	s_mov_b32 s17, 0x5040100
	s_mov_b32 s19, 0x800ff
	;; [unrolled: 1-line block ×3, first 2 shown]
.LBB24_5:                               ; =>This Inner Loop Header: Depth=1
	v_sub_u32_e32 v5, 0, v0
	v_max_i32_e32 v5, v0, v5
	v_mul_hi_u32 v9, v5, v1
	v_mul_lo_u32 v10, v9, s7
	v_sub_u32_e32 v5, v5, v10
	v_add_u32_e32 v11, 1, v9
	v_cmp_le_u32_e32 vcc, s7, v5
	v_subrev_u32_e32 v10, s7, v5
	v_cndmask_b32_e32 v9, v9, v11, vcc
	v_cndmask_b32_e32 v5, v5, v10, vcc
	v_ashrrev_i32_e32 v4, 31, v0
	v_add_u32_e32 v10, 1, v9
	v_cmp_le_u32_e32 vcc, s7, v5
	v_xor_b32_e32 v4, s5, v4
	v_cndmask_b32_e32 v5, v9, v10, vcc
	v_xor_b32_e32 v5, v5, v4
	v_sub_u32_e32 v5, v5, v4
	v_mul_lo_u32 v4, v5, s14
	v_mad_u64_u32 v[10:11], s[0:1], s11, v5, v[0:1]
	v_mad_u64_u32 v[12:13], s[0:1], s9, v5, v[2:3]
	v_ashrrev_i32_e32 v5, 31, v4
	v_lshlrev_b64 v[4:5], 1, v[4:5]
	v_ashrrev_i32_e32 v11, 31, v10
	v_add_co_u32_e32 v9, vcc, s6, v4
	v_lshlrev_b64 v[10:11], 1, v[10:11]
	v_addc_co_u32_e32 v14, vcc, v3, v5, vcc
	v_add_co_u32_e32 v4, vcc, s15, v10
	v_addc_co_u32_e32 v5, vcc, v6, v11, vcc
	v_ashrrev_i32_e32 v13, 31, v12
	v_add_co_u32_e32 v10, vcc, s18, v10
	v_lshlrev_b64 v[12:13], 1, v[12:13]
	v_addc_co_u32_e32 v11, vcc, v7, v11, vcc
	global_load_ushort v15, v[4:5], off
	global_load_ushort v16, v[10:11], off
	v_add_co_u32_e32 v4, vcc, v9, v12
	v_addc_co_u32_e32 v5, vcc, v14, v13, vcc
	global_load_dword v9, v[4:5], off
	v_add_u32_e32 v0, s4, v0
	v_cmp_le_i32_e32 vcc, s8, v0
	s_or_b64 s[2:3], vcc, s[2:3]
	v_add_u32_e32 v2, s10, v2
	s_waitcnt vmcnt(2)
	v_and_b32_e32 v11, 0xff, v15
	s_waitcnt vmcnt(1)
	v_and_b32_e32 v13, 0xff, v16
	v_lshrrev_b16_e32 v10, 8, v15
	v_lshrrev_b16_e32 v12, 8, v16
	v_lshlrev_b32_e32 v11, 16, v11
	v_lshlrev_b32_e32 v13, 16, v13
	s_waitcnt vmcnt(0)
	v_and_b32_e32 v15, 0xff, v9
	v_and_b32_sdwa v16, v9, s12 dst_sel:DWORD dst_unused:UNUSED_PAD src0_sel:WORD_1 src1_sel:DWORD
	v_lshrrev_b16_e32 v14, 8, v9
	v_lshlrev_b32_e32 v15, 16, v15
	v_lshl_or_b32 v10, v10, 24, v11
	v_lshlrev_b32_e32 v11, 16, v16
	v_lshl_or_b32 v13, v12, 24, v13
	v_lshl_or_b32 v12, v14, 24, v15
	v_and_or_b32 v14, v9, s13, v11
	v_mov_b32_e32 v16, v13
	v_mov_b32_e32 v17, v10
	v_mov_b32_e32 v11, v12
	v_pk_mul_f32 v[14:15], v[16:17], v[14:15] op_sel_hi:[1,0]
	v_pk_mul_f32 v[10:11], v[10:11], v[12:13]
	v_bfe_u32 v9, v14, 16, 1
	v_bfe_u32 v12, v15, 16, 1
	v_add3_u32 v12, v15, v12, s16
	v_add3_u32 v9, v14, v9, s16
	v_bfe_u32 v13, v10, 16, 1
	v_bfe_u32 v16, v11, 16, 1
	v_lshrrev_b32_e32 v9, 16, v9
	v_lshrrev_b32_e32 v12, 16, v12
	v_cmp_o_f32_e32 vcc, v15, v15
	v_add3_u32 v15, v11, v16, s16
	v_add3_u32 v13, v10, v13, s16
	v_cmp_o_f32_e64 s[0:1], v14, v14
	v_cndmask_b32_e64 v9, v8, v9, s[0:1]
	v_cndmask_b32_e32 v12, v8, v12, vcc
	v_lshrrev_b32_e32 v13, 16, v13
	v_lshrrev_b32_e32 v14, 16, v15
	v_cmp_o_f32_e32 vcc, v11, v11
	v_cmp_o_f32_e64 s[0:1], v10, v10
	v_perm_b32 v9, v12, v9, s17
	v_cndmask_b32_e64 v10, v8, v13, s[0:1]
	v_cndmask_b32_e32 v11, v8, v14, vcc
	v_perm_b32 v10, v11, v10, s17
	v_and_b32_e32 v11, 0xff, v9
	v_pk_lshrrev_b16 v12, s19, v9
	v_pk_lshrrev_b16 v13, s20, v9
	v_and_b32_e32 v9, 0xff0000, v9
	v_and_b32_e32 v9, 0xffff0000, v9
	;; [unrolled: 1-line block ×4, first 2 shown]
	v_lshlrev_b32_e32 v14, 16, v11
	v_pk_lshrrev_b16 v16, s19, v10
	v_pk_lshrrev_b16 v17, s20, v10
	v_lshl_or_b32 v11, v12, 8, v9
	v_and_b32_e32 v9, 0xffff0000, v18
	v_lshlrev_b32_e32 v12, 16, v15
	v_lshl_or_b32 v10, v13, 24, v14
	v_lshl_or_b32 v13, v16, 8, v9
	;; [unrolled: 1-line block ×3, first 2 shown]
	v_pk_add_f32 v[14:15], v[12:13], v[10:11] neg_lo:[0,1] neg_hi:[0,1]
	v_pk_add_f32 v[10:11], v[12:13], v[10:11]
	v_bfe_u32 v9, v14, 16, 1
	v_bfe_u32 v10, v11, 16, 1
	v_add3_u32 v10, v11, v10, s16
	v_add3_u32 v9, v14, v9, s16
	v_lshrrev_b32_e32 v9, 16, v9
	v_lshrrev_b32_e32 v10, 16, v10
	v_cmp_o_f32_e32 vcc, v11, v11
	v_cmp_o_f32_e64 s[0:1], v14, v14
	v_cndmask_b32_e64 v9, v8, v9, s[0:1]
	v_cndmask_b32_e32 v10, v8, v10, vcc
	v_perm_b32 v9, v10, v9, s17
	global_store_dword v[4:5], v9, off
	s_andn2_b64 exec, exec, s[2:3]
	s_cbranch_execnz .LBB24_5
.LBB24_6:
	s_endpgm
	.section	.rodata,"a",@progbits
	.p2align	6, 0x0
	.amdhsa_kernel _ZN4vllm31batched_rotary_embedding_kernelIN3c108BFloat16ELb0ELb0EEEvPKlPT_S6_PKS5_S8_S4_illiii
		.amdhsa_group_segment_fixed_size 0
		.amdhsa_private_segment_fixed_size 0
		.amdhsa_kernarg_size 344
		.amdhsa_user_sgpr_count 6
		.amdhsa_user_sgpr_private_segment_buffer 1
		.amdhsa_user_sgpr_dispatch_ptr 0
		.amdhsa_user_sgpr_queue_ptr 0
		.amdhsa_user_sgpr_kernarg_segment_ptr 1
		.amdhsa_user_sgpr_dispatch_id 0
		.amdhsa_user_sgpr_flat_scratch_init 0
		.amdhsa_user_sgpr_kernarg_preload_length 0
		.amdhsa_user_sgpr_kernarg_preload_offset 0
		.amdhsa_user_sgpr_private_segment_size 0
		.amdhsa_uses_dynamic_stack 0
		.amdhsa_system_sgpr_private_segment_wavefront_offset 0
		.amdhsa_system_sgpr_workgroup_id_x 1
		.amdhsa_system_sgpr_workgroup_id_y 0
		.amdhsa_system_sgpr_workgroup_id_z 0
		.amdhsa_system_sgpr_workgroup_info 0
		.amdhsa_system_vgpr_workitem_id 0
		.amdhsa_next_free_vgpr 21
		.amdhsa_next_free_sgpr 36
		.amdhsa_accum_offset 24
		.amdhsa_reserve_vcc 1
		.amdhsa_reserve_flat_scratch 0
		.amdhsa_float_round_mode_32 0
		.amdhsa_float_round_mode_16_64 0
		.amdhsa_float_denorm_mode_32 3
		.amdhsa_float_denorm_mode_16_64 3
		.amdhsa_dx10_clamp 1
		.amdhsa_ieee_mode 1
		.amdhsa_fp16_overflow 0
		.amdhsa_tg_split 0
		.amdhsa_exception_fp_ieee_invalid_op 0
		.amdhsa_exception_fp_denorm_src 0
		.amdhsa_exception_fp_ieee_div_zero 0
		.amdhsa_exception_fp_ieee_overflow 0
		.amdhsa_exception_fp_ieee_underflow 0
		.amdhsa_exception_fp_ieee_inexact 0
		.amdhsa_exception_int_div_zero 0
	.end_amdhsa_kernel
	.section	.text._ZN4vllm31batched_rotary_embedding_kernelIN3c108BFloat16ELb0ELb0EEEvPKlPT_S6_PKS5_S8_S4_illiii,"axG",@progbits,_ZN4vllm31batched_rotary_embedding_kernelIN3c108BFloat16ELb0ELb0EEEvPKlPT_S6_PKS5_S8_S4_illiii,comdat
.Lfunc_end24:
	.size	_ZN4vllm31batched_rotary_embedding_kernelIN3c108BFloat16ELb0ELb0EEEvPKlPT_S6_PKS5_S8_S4_illiii, .Lfunc_end24-_ZN4vllm31batched_rotary_embedding_kernelIN3c108BFloat16ELb0ELb0EEEvPKlPT_S6_PKS5_S8_S4_illiii
                                        ; -- End function
	.section	.AMDGPU.csdata,"",@progbits
; Kernel info:
; codeLenInByte = 2012
; NumSgprs: 40
; NumVgprs: 21
; NumAgprs: 0
; TotalNumVgprs: 21
; ScratchSize: 0
; MemoryBound: 0
; FloatMode: 240
; IeeeMode: 1
; LDSByteSize: 0 bytes/workgroup (compile time only)
; SGPRBlocks: 4
; VGPRBlocks: 2
; NumSGPRsForWavesPerEU: 40
; NumVGPRsForWavesPerEU: 21
; AccumOffset: 24
; Occupancy: 8
; WaveLimiterHint : 1
; COMPUTE_PGM_RSRC2:SCRATCH_EN: 0
; COMPUTE_PGM_RSRC2:USER_SGPR: 6
; COMPUTE_PGM_RSRC2:TRAP_HANDLER: 0
; COMPUTE_PGM_RSRC2:TGID_X_EN: 1
; COMPUTE_PGM_RSRC2:TGID_Y_EN: 0
; COMPUTE_PGM_RSRC2:TGID_Z_EN: 0
; COMPUTE_PGM_RSRC2:TIDIG_COMP_CNT: 0
; COMPUTE_PGM_RSRC3_GFX90A:ACCUM_OFFSET: 5
; COMPUTE_PGM_RSRC3_GFX90A:TG_SPLIT: 0
	.text
	.p2alignl 6, 3212836864
	.fill 256, 4, 3212836864
	.type	__hip_cuid_dbae7dc6e20e666f,@object ; @__hip_cuid_dbae7dc6e20e666f
	.section	.bss,"aw",@nobits
	.globl	__hip_cuid_dbae7dc6e20e666f
__hip_cuid_dbae7dc6e20e666f:
	.byte	0                               ; 0x0
	.size	__hip_cuid_dbae7dc6e20e666f, 1

	.ident	"AMD clang version 19.0.0git (https://github.com/RadeonOpenCompute/llvm-project roc-6.4.0 25133 c7fe45cf4b819c5991fe208aaa96edf142730f1d)"
	.section	".note.GNU-stack","",@progbits
	.addrsig
	.addrsig_sym __hip_cuid_dbae7dc6e20e666f
	.amdgpu_metadata
---
amdhsa.kernels:
  - .agpr_count:     0
    .args:           []
    .group_segment_fixed_size: 0
    .kernarg_segment_align: 4
    .kernarg_segment_size: 0
    .language:       OpenCL C
    .language_version:
      - 2
      - 0
    .max_flat_workgroup_size: 1024
    .name:           _ZN7ck_tileL11flush_cacheEv
    .private_segment_fixed_size: 0
    .sgpr_count:     4
    .sgpr_spill_count: 0
    .symbol:         _ZN7ck_tileL11flush_cacheEv.kd
    .uniform_work_group_size: 1
    .uses_dynamic_stack: false
    .vgpr_count:     0
    .vgpr_spill_count: 0
    .wavefront_size: 64
  - .agpr_count:     0
    .args:
      - .actual_access:  read_only
        .address_space:  global
        .offset:         0
        .size:           8
        .value_kind:     global_buffer
      - .address_space:  global
        .offset:         8
        .size:           8
        .value_kind:     global_buffer
      - .address_space:  global
        .offset:         16
        .size:           8
        .value_kind:     global_buffer
      - .actual_access:  read_only
        .address_space:  global
        .offset:         24
        .size:           8
        .value_kind:     global_buffer
      - .actual_access:  read_only
        .address_space:  global
        .offset:         32
        .size:           8
        .value_kind:     global_buffer
      - .offset:         40
        .size:           4
        .value_kind:     by_value
      - .offset:         48
        .size:           8
        .value_kind:     by_value
      - .offset:         56
        .size:           8
        .value_kind:     by_value
      - .offset:         64
        .size:           4
        .value_kind:     by_value
      - .offset:         68
        .size:           4
        .value_kind:     by_value
      - .offset:         72
        .size:           4
        .value_kind:     by_value
      - .offset:         80
        .size:           4
        .value_kind:     hidden_block_count_x
      - .offset:         84
        .size:           4
        .value_kind:     hidden_block_count_y
      - .offset:         88
        .size:           4
        .value_kind:     hidden_block_count_z
      - .offset:         92
        .size:           2
        .value_kind:     hidden_group_size_x
      - .offset:         94
        .size:           2
        .value_kind:     hidden_group_size_y
      - .offset:         96
        .size:           2
        .value_kind:     hidden_group_size_z
      - .offset:         98
        .size:           2
        .value_kind:     hidden_remainder_x
      - .offset:         100
        .size:           2
        .value_kind:     hidden_remainder_y
      - .offset:         102
        .size:           2
        .value_kind:     hidden_remainder_z
      - .offset:         120
        .size:           8
        .value_kind:     hidden_global_offset_x
      - .offset:         128
        .size:           8
        .value_kind:     hidden_global_offset_y
      - .offset:         136
        .size:           8
        .value_kind:     hidden_global_offset_z
      - .offset:         144
        .size:           2
        .value_kind:     hidden_grid_dims
    .group_segment_fixed_size: 0
    .kernarg_segment_align: 8
    .kernarg_segment_size: 336
    .language:       OpenCL C
    .language_version:
      - 2
      - 0
    .max_flat_workgroup_size: 1024
    .name:           _ZN4vllm23rotary_embedding_kernelIfLb1ELb1EEEvPKlPT_S4_PKS3_S6_illiii
    .private_segment_fixed_size: 0
    .sgpr_count:     36
    .sgpr_spill_count: 0
    .symbol:         _ZN4vllm23rotary_embedding_kernelIfLb1ELb1EEEvPKlPT_S4_PKS3_S6_illiii.kd
    .uniform_work_group_size: 1
    .uses_dynamic_stack: false
    .vgpr_count:     17
    .vgpr_spill_count: 0
    .wavefront_size: 64
  - .agpr_count:     0
    .args:
      - .actual_access:  read_only
        .address_space:  global
        .offset:         0
        .size:           8
        .value_kind:     global_buffer
      - .address_space:  global
        .offset:         8
        .size:           8
        .value_kind:     global_buffer
      - .address_space:  global
        .offset:         16
        .size:           8
        .value_kind:     global_buffer
      - .actual_access:  read_only
        .address_space:  global
        .offset:         24
        .size:           8
        .value_kind:     global_buffer
      - .actual_access:  read_only
        .address_space:  global
        .offset:         32
        .size:           8
        .value_kind:     global_buffer
      - .offset:         40
        .size:           4
        .value_kind:     by_value
      - .offset:         48
        .size:           8
        .value_kind:     by_value
      - .offset:         56
        .size:           8
        .value_kind:     by_value
      - .offset:         64
        .size:           4
        .value_kind:     by_value
      - .offset:         68
        .size:           4
        .value_kind:     by_value
      - .offset:         72
        .size:           4
        .value_kind:     by_value
      - .offset:         80
        .size:           4
        .value_kind:     hidden_block_count_x
      - .offset:         84
        .size:           4
        .value_kind:     hidden_block_count_y
      - .offset:         88
        .size:           4
        .value_kind:     hidden_block_count_z
      - .offset:         92
        .size:           2
        .value_kind:     hidden_group_size_x
      - .offset:         94
        .size:           2
        .value_kind:     hidden_group_size_y
      - .offset:         96
        .size:           2
        .value_kind:     hidden_group_size_z
      - .offset:         98
        .size:           2
        .value_kind:     hidden_remainder_x
      - .offset:         100
        .size:           2
        .value_kind:     hidden_remainder_y
      - .offset:         102
        .size:           2
        .value_kind:     hidden_remainder_z
      - .offset:         120
        .size:           8
        .value_kind:     hidden_global_offset_x
      - .offset:         128
        .size:           8
        .value_kind:     hidden_global_offset_y
      - .offset:         136
        .size:           8
        .value_kind:     hidden_global_offset_z
      - .offset:         144
        .size:           2
        .value_kind:     hidden_grid_dims
    .group_segment_fixed_size: 0
    .kernarg_segment_align: 8
    .kernarg_segment_size: 336
    .language:       OpenCL C
    .language_version:
      - 2
      - 0
    .max_flat_workgroup_size: 1024
    .name:           _ZN4vllm23rotary_embedding_kernelIfLb1ELb0EEEvPKlPT_S4_PKS3_S6_illiii
    .private_segment_fixed_size: 0
    .sgpr_count:     34
    .sgpr_spill_count: 0
    .symbol:         _ZN4vllm23rotary_embedding_kernelIfLb1ELb0EEEvPKlPT_S4_PKS3_S6_illiii.kd
    .uniform_work_group_size: 1
    .uses_dynamic_stack: false
    .vgpr_count:     17
    .vgpr_spill_count: 0
    .wavefront_size: 64
  - .agpr_count:     0
    .args:
      - .actual_access:  read_only
        .address_space:  global
        .offset:         0
        .size:           8
        .value_kind:     global_buffer
      - .address_space:  global
        .offset:         8
        .size:           8
        .value_kind:     global_buffer
      - .address_space:  global
        .offset:         16
        .size:           8
        .value_kind:     global_buffer
      - .actual_access:  read_only
        .address_space:  global
        .offset:         24
        .size:           8
        .value_kind:     global_buffer
      - .actual_access:  read_only
        .address_space:  global
        .offset:         32
        .size:           8
        .value_kind:     global_buffer
      - .offset:         40
        .size:           4
        .value_kind:     by_value
      - .offset:         48
        .size:           8
        .value_kind:     by_value
      - .offset:         56
        .size:           8
        .value_kind:     by_value
      - .offset:         64
        .size:           4
        .value_kind:     by_value
      - .offset:         68
        .size:           4
        .value_kind:     by_value
      - .offset:         72
        .size:           4
        .value_kind:     by_value
      - .offset:         80
        .size:           4
        .value_kind:     hidden_block_count_x
      - .offset:         84
        .size:           4
        .value_kind:     hidden_block_count_y
      - .offset:         88
        .size:           4
        .value_kind:     hidden_block_count_z
      - .offset:         92
        .size:           2
        .value_kind:     hidden_group_size_x
      - .offset:         94
        .size:           2
        .value_kind:     hidden_group_size_y
      - .offset:         96
        .size:           2
        .value_kind:     hidden_group_size_z
      - .offset:         98
        .size:           2
        .value_kind:     hidden_remainder_x
      - .offset:         100
        .size:           2
        .value_kind:     hidden_remainder_y
      - .offset:         102
        .size:           2
        .value_kind:     hidden_remainder_z
      - .offset:         120
        .size:           8
        .value_kind:     hidden_global_offset_x
      - .offset:         128
        .size:           8
        .value_kind:     hidden_global_offset_y
      - .offset:         136
        .size:           8
        .value_kind:     hidden_global_offset_z
      - .offset:         144
        .size:           2
        .value_kind:     hidden_grid_dims
    .group_segment_fixed_size: 0
    .kernarg_segment_align: 8
    .kernarg_segment_size: 336
    .language:       OpenCL C
    .language_version:
      - 2
      - 0
    .max_flat_workgroup_size: 1024
    .name:           _ZN4vllm23rotary_embedding_kernelIfLb0ELb1EEEvPKlPT_S4_PKS3_S6_illiii
    .private_segment_fixed_size: 0
    .sgpr_count:     36
    .sgpr_spill_count: 0
    .symbol:         _ZN4vllm23rotary_embedding_kernelIfLb0ELb1EEEvPKlPT_S4_PKS3_S6_illiii.kd
    .uniform_work_group_size: 1
    .uses_dynamic_stack: false
    .vgpr_count:     18
    .vgpr_spill_count: 0
    .wavefront_size: 64
  - .agpr_count:     0
    .args:
      - .actual_access:  read_only
        .address_space:  global
        .offset:         0
        .size:           8
        .value_kind:     global_buffer
      - .address_space:  global
        .offset:         8
        .size:           8
        .value_kind:     global_buffer
      - .address_space:  global
        .offset:         16
        .size:           8
        .value_kind:     global_buffer
      - .actual_access:  read_only
        .address_space:  global
        .offset:         24
        .size:           8
        .value_kind:     global_buffer
      - .actual_access:  read_only
        .address_space:  global
        .offset:         32
        .size:           8
        .value_kind:     global_buffer
      - .offset:         40
        .size:           4
        .value_kind:     by_value
      - .offset:         48
        .size:           8
        .value_kind:     by_value
      - .offset:         56
        .size:           8
        .value_kind:     by_value
      - .offset:         64
        .size:           4
        .value_kind:     by_value
      - .offset:         68
        .size:           4
        .value_kind:     by_value
      - .offset:         72
        .size:           4
        .value_kind:     by_value
      - .offset:         80
        .size:           4
        .value_kind:     hidden_block_count_x
      - .offset:         84
        .size:           4
        .value_kind:     hidden_block_count_y
      - .offset:         88
        .size:           4
        .value_kind:     hidden_block_count_z
      - .offset:         92
        .size:           2
        .value_kind:     hidden_group_size_x
      - .offset:         94
        .size:           2
        .value_kind:     hidden_group_size_y
      - .offset:         96
        .size:           2
        .value_kind:     hidden_group_size_z
      - .offset:         98
        .size:           2
        .value_kind:     hidden_remainder_x
      - .offset:         100
        .size:           2
        .value_kind:     hidden_remainder_y
      - .offset:         102
        .size:           2
        .value_kind:     hidden_remainder_z
      - .offset:         120
        .size:           8
        .value_kind:     hidden_global_offset_x
      - .offset:         128
        .size:           8
        .value_kind:     hidden_global_offset_y
      - .offset:         136
        .size:           8
        .value_kind:     hidden_global_offset_z
      - .offset:         144
        .size:           2
        .value_kind:     hidden_grid_dims
    .group_segment_fixed_size: 0
    .kernarg_segment_align: 8
    .kernarg_segment_size: 336
    .language:       OpenCL C
    .language_version:
      - 2
      - 0
    .max_flat_workgroup_size: 1024
    .name:           _ZN4vllm23rotary_embedding_kernelIfLb0ELb0EEEvPKlPT_S4_PKS3_S6_illiii
    .private_segment_fixed_size: 0
    .sgpr_count:     34
    .sgpr_spill_count: 0
    .symbol:         _ZN4vllm23rotary_embedding_kernelIfLb0ELb0EEEvPKlPT_S4_PKS3_S6_illiii.kd
    .uniform_work_group_size: 1
    .uses_dynamic_stack: false
    .vgpr_count:     18
    .vgpr_spill_count: 0
    .wavefront_size: 64
  - .agpr_count:     0
    .args:
      - .actual_access:  read_only
        .address_space:  global
        .offset:         0
        .size:           8
        .value_kind:     global_buffer
      - .address_space:  global
        .offset:         8
        .size:           8
        .value_kind:     global_buffer
      - .address_space:  global
        .offset:         16
        .size:           8
        .value_kind:     global_buffer
      - .actual_access:  read_only
        .address_space:  global
        .offset:         24
        .size:           8
        .value_kind:     global_buffer
      - .actual_access:  read_only
        .address_space:  global
        .offset:         32
        .size:           8
        .value_kind:     global_buffer
      - .offset:         40
        .size:           4
        .value_kind:     by_value
      - .offset:         48
        .size:           8
        .value_kind:     by_value
      - .offset:         56
        .size:           8
        .value_kind:     by_value
      - .offset:         64
        .size:           4
        .value_kind:     by_value
      - .offset:         68
        .size:           4
        .value_kind:     by_value
      - .offset:         72
        .size:           4
        .value_kind:     by_value
      - .offset:         80
        .size:           4
        .value_kind:     hidden_block_count_x
      - .offset:         84
        .size:           4
        .value_kind:     hidden_block_count_y
      - .offset:         88
        .size:           4
        .value_kind:     hidden_block_count_z
      - .offset:         92
        .size:           2
        .value_kind:     hidden_group_size_x
      - .offset:         94
        .size:           2
        .value_kind:     hidden_group_size_y
      - .offset:         96
        .size:           2
        .value_kind:     hidden_group_size_z
      - .offset:         98
        .size:           2
        .value_kind:     hidden_remainder_x
      - .offset:         100
        .size:           2
        .value_kind:     hidden_remainder_y
      - .offset:         102
        .size:           2
        .value_kind:     hidden_remainder_z
      - .offset:         120
        .size:           8
        .value_kind:     hidden_global_offset_x
      - .offset:         128
        .size:           8
        .value_kind:     hidden_global_offset_y
      - .offset:         136
        .size:           8
        .value_kind:     hidden_global_offset_z
      - .offset:         144
        .size:           2
        .value_kind:     hidden_grid_dims
    .group_segment_fixed_size: 0
    .kernarg_segment_align: 8
    .kernarg_segment_size: 336
    .language:       OpenCL C
    .language_version:
      - 2
      - 0
    .max_flat_workgroup_size: 1024
    .name:           _ZN4vllm23rotary_embedding_kernelIN3c104HalfELb1ELb1EEEvPKlPT_S6_PKS5_S8_illiii
    .private_segment_fixed_size: 0
    .sgpr_count:     36
    .sgpr_spill_count: 0
    .symbol:         _ZN4vllm23rotary_embedding_kernelIN3c104HalfELb1ELb1EEEvPKlPT_S6_PKS5_S8_illiii.kd
    .uniform_work_group_size: 1
    .uses_dynamic_stack: false
    .vgpr_count:     17
    .vgpr_spill_count: 0
    .wavefront_size: 64
  - .agpr_count:     0
    .args:
      - .actual_access:  read_only
        .address_space:  global
        .offset:         0
        .size:           8
        .value_kind:     global_buffer
      - .address_space:  global
        .offset:         8
        .size:           8
        .value_kind:     global_buffer
      - .address_space:  global
        .offset:         16
        .size:           8
        .value_kind:     global_buffer
      - .actual_access:  read_only
        .address_space:  global
        .offset:         24
        .size:           8
        .value_kind:     global_buffer
      - .actual_access:  read_only
        .address_space:  global
        .offset:         32
        .size:           8
        .value_kind:     global_buffer
      - .offset:         40
        .size:           4
        .value_kind:     by_value
      - .offset:         48
        .size:           8
        .value_kind:     by_value
      - .offset:         56
        .size:           8
        .value_kind:     by_value
      - .offset:         64
        .size:           4
        .value_kind:     by_value
      - .offset:         68
        .size:           4
        .value_kind:     by_value
      - .offset:         72
        .size:           4
        .value_kind:     by_value
      - .offset:         80
        .size:           4
        .value_kind:     hidden_block_count_x
      - .offset:         84
        .size:           4
        .value_kind:     hidden_block_count_y
      - .offset:         88
        .size:           4
        .value_kind:     hidden_block_count_z
      - .offset:         92
        .size:           2
        .value_kind:     hidden_group_size_x
      - .offset:         94
        .size:           2
        .value_kind:     hidden_group_size_y
      - .offset:         96
        .size:           2
        .value_kind:     hidden_group_size_z
      - .offset:         98
        .size:           2
        .value_kind:     hidden_remainder_x
      - .offset:         100
        .size:           2
        .value_kind:     hidden_remainder_y
      - .offset:         102
        .size:           2
        .value_kind:     hidden_remainder_z
      - .offset:         120
        .size:           8
        .value_kind:     hidden_global_offset_x
      - .offset:         128
        .size:           8
        .value_kind:     hidden_global_offset_y
      - .offset:         136
        .size:           8
        .value_kind:     hidden_global_offset_z
      - .offset:         144
        .size:           2
        .value_kind:     hidden_grid_dims
    .group_segment_fixed_size: 0
    .kernarg_segment_align: 8
    .kernarg_segment_size: 336
    .language:       OpenCL C
    .language_version:
      - 2
      - 0
    .max_flat_workgroup_size: 1024
    .name:           _ZN4vllm23rotary_embedding_kernelIN3c104HalfELb1ELb0EEEvPKlPT_S6_PKS5_S8_illiii
    .private_segment_fixed_size: 0
    .sgpr_count:     34
    .sgpr_spill_count: 0
    .symbol:         _ZN4vllm23rotary_embedding_kernelIN3c104HalfELb1ELb0EEEvPKlPT_S6_PKS5_S8_illiii.kd
    .uniform_work_group_size: 1
    .uses_dynamic_stack: false
    .vgpr_count:     17
    .vgpr_spill_count: 0
    .wavefront_size: 64
  - .agpr_count:     0
    .args:
      - .actual_access:  read_only
        .address_space:  global
        .offset:         0
        .size:           8
        .value_kind:     global_buffer
      - .address_space:  global
        .offset:         8
        .size:           8
        .value_kind:     global_buffer
      - .address_space:  global
        .offset:         16
        .size:           8
        .value_kind:     global_buffer
      - .actual_access:  read_only
        .address_space:  global
        .offset:         24
        .size:           8
        .value_kind:     global_buffer
      - .actual_access:  read_only
        .address_space:  global
        .offset:         32
        .size:           8
        .value_kind:     global_buffer
      - .offset:         40
        .size:           4
        .value_kind:     by_value
      - .offset:         48
        .size:           8
        .value_kind:     by_value
      - .offset:         56
        .size:           8
        .value_kind:     by_value
      - .offset:         64
        .size:           4
        .value_kind:     by_value
      - .offset:         68
        .size:           4
        .value_kind:     by_value
      - .offset:         72
        .size:           4
        .value_kind:     by_value
      - .offset:         80
        .size:           4
        .value_kind:     hidden_block_count_x
      - .offset:         84
        .size:           4
        .value_kind:     hidden_block_count_y
      - .offset:         88
        .size:           4
        .value_kind:     hidden_block_count_z
      - .offset:         92
        .size:           2
        .value_kind:     hidden_group_size_x
      - .offset:         94
        .size:           2
        .value_kind:     hidden_group_size_y
      - .offset:         96
        .size:           2
        .value_kind:     hidden_group_size_z
      - .offset:         98
        .size:           2
        .value_kind:     hidden_remainder_x
      - .offset:         100
        .size:           2
        .value_kind:     hidden_remainder_y
      - .offset:         102
        .size:           2
        .value_kind:     hidden_remainder_z
      - .offset:         120
        .size:           8
        .value_kind:     hidden_global_offset_x
      - .offset:         128
        .size:           8
        .value_kind:     hidden_global_offset_y
      - .offset:         136
        .size:           8
        .value_kind:     hidden_global_offset_z
      - .offset:         144
        .size:           2
        .value_kind:     hidden_grid_dims
    .group_segment_fixed_size: 0
    .kernarg_segment_align: 8
    .kernarg_segment_size: 336
    .language:       OpenCL C
    .language_version:
      - 2
      - 0
    .max_flat_workgroup_size: 1024
    .name:           _ZN4vllm23rotary_embedding_kernelIN3c104HalfELb0ELb1EEEvPKlPT_S6_PKS5_S8_illiii
    .private_segment_fixed_size: 0
    .sgpr_count:     36
    .sgpr_spill_count: 0
    .symbol:         _ZN4vllm23rotary_embedding_kernelIN3c104HalfELb0ELb1EEEvPKlPT_S6_PKS5_S8_illiii.kd
    .uniform_work_group_size: 1
    .uses_dynamic_stack: false
    .vgpr_count:     18
    .vgpr_spill_count: 0
    .wavefront_size: 64
  - .agpr_count:     0
    .args:
      - .actual_access:  read_only
        .address_space:  global
        .offset:         0
        .size:           8
        .value_kind:     global_buffer
      - .address_space:  global
        .offset:         8
        .size:           8
        .value_kind:     global_buffer
      - .address_space:  global
        .offset:         16
        .size:           8
        .value_kind:     global_buffer
      - .actual_access:  read_only
        .address_space:  global
        .offset:         24
        .size:           8
        .value_kind:     global_buffer
      - .actual_access:  read_only
        .address_space:  global
        .offset:         32
        .size:           8
        .value_kind:     global_buffer
      - .offset:         40
        .size:           4
        .value_kind:     by_value
      - .offset:         48
        .size:           8
        .value_kind:     by_value
      - .offset:         56
        .size:           8
        .value_kind:     by_value
      - .offset:         64
        .size:           4
        .value_kind:     by_value
      - .offset:         68
        .size:           4
        .value_kind:     by_value
      - .offset:         72
        .size:           4
        .value_kind:     by_value
      - .offset:         80
        .size:           4
        .value_kind:     hidden_block_count_x
      - .offset:         84
        .size:           4
        .value_kind:     hidden_block_count_y
      - .offset:         88
        .size:           4
        .value_kind:     hidden_block_count_z
      - .offset:         92
        .size:           2
        .value_kind:     hidden_group_size_x
      - .offset:         94
        .size:           2
        .value_kind:     hidden_group_size_y
      - .offset:         96
        .size:           2
        .value_kind:     hidden_group_size_z
      - .offset:         98
        .size:           2
        .value_kind:     hidden_remainder_x
      - .offset:         100
        .size:           2
        .value_kind:     hidden_remainder_y
      - .offset:         102
        .size:           2
        .value_kind:     hidden_remainder_z
      - .offset:         120
        .size:           8
        .value_kind:     hidden_global_offset_x
      - .offset:         128
        .size:           8
        .value_kind:     hidden_global_offset_y
      - .offset:         136
        .size:           8
        .value_kind:     hidden_global_offset_z
      - .offset:         144
        .size:           2
        .value_kind:     hidden_grid_dims
    .group_segment_fixed_size: 0
    .kernarg_segment_align: 8
    .kernarg_segment_size: 336
    .language:       OpenCL C
    .language_version:
      - 2
      - 0
    .max_flat_workgroup_size: 1024
    .name:           _ZN4vllm23rotary_embedding_kernelIN3c104HalfELb0ELb0EEEvPKlPT_S6_PKS5_S8_illiii
    .private_segment_fixed_size: 0
    .sgpr_count:     34
    .sgpr_spill_count: 0
    .symbol:         _ZN4vllm23rotary_embedding_kernelIN3c104HalfELb0ELb0EEEvPKlPT_S6_PKS5_S8_illiii.kd
    .uniform_work_group_size: 1
    .uses_dynamic_stack: false
    .vgpr_count:     18
    .vgpr_spill_count: 0
    .wavefront_size: 64
  - .agpr_count:     0
    .args:
      - .actual_access:  read_only
        .address_space:  global
        .offset:         0
        .size:           8
        .value_kind:     global_buffer
      - .address_space:  global
        .offset:         8
        .size:           8
        .value_kind:     global_buffer
      - .address_space:  global
        .offset:         16
        .size:           8
        .value_kind:     global_buffer
      - .actual_access:  read_only
        .address_space:  global
        .offset:         24
        .size:           8
        .value_kind:     global_buffer
      - .actual_access:  read_only
        .address_space:  global
        .offset:         32
        .size:           8
        .value_kind:     global_buffer
      - .offset:         40
        .size:           4
        .value_kind:     by_value
      - .offset:         48
        .size:           8
        .value_kind:     by_value
      - .offset:         56
        .size:           8
        .value_kind:     by_value
      - .offset:         64
        .size:           4
        .value_kind:     by_value
      - .offset:         68
        .size:           4
        .value_kind:     by_value
      - .offset:         72
        .size:           4
        .value_kind:     by_value
      - .offset:         80
        .size:           4
        .value_kind:     hidden_block_count_x
      - .offset:         84
        .size:           4
        .value_kind:     hidden_block_count_y
      - .offset:         88
        .size:           4
        .value_kind:     hidden_block_count_z
      - .offset:         92
        .size:           2
        .value_kind:     hidden_group_size_x
      - .offset:         94
        .size:           2
        .value_kind:     hidden_group_size_y
      - .offset:         96
        .size:           2
        .value_kind:     hidden_group_size_z
      - .offset:         98
        .size:           2
        .value_kind:     hidden_remainder_x
      - .offset:         100
        .size:           2
        .value_kind:     hidden_remainder_y
      - .offset:         102
        .size:           2
        .value_kind:     hidden_remainder_z
      - .offset:         120
        .size:           8
        .value_kind:     hidden_global_offset_x
      - .offset:         128
        .size:           8
        .value_kind:     hidden_global_offset_y
      - .offset:         136
        .size:           8
        .value_kind:     hidden_global_offset_z
      - .offset:         144
        .size:           2
        .value_kind:     hidden_grid_dims
    .group_segment_fixed_size: 0
    .kernarg_segment_align: 8
    .kernarg_segment_size: 336
    .language:       OpenCL C
    .language_version:
      - 2
      - 0
    .max_flat_workgroup_size: 1024
    .name:           _ZN4vllm23rotary_embedding_kernelIN3c108BFloat16ELb1ELb1EEEvPKlPT_S6_PKS5_S8_illiii
    .private_segment_fixed_size: 0
    .sgpr_count:     43
    .sgpr_spill_count: 0
    .symbol:         _ZN4vllm23rotary_embedding_kernelIN3c108BFloat16ELb1ELb1EEEvPKlPT_S6_PKS5_S8_illiii.kd
    .uniform_work_group_size: 1
    .uses_dynamic_stack: false
    .vgpr_count:     22
    .vgpr_spill_count: 0
    .wavefront_size: 64
  - .agpr_count:     0
    .args:
      - .actual_access:  read_only
        .address_space:  global
        .offset:         0
        .size:           8
        .value_kind:     global_buffer
      - .address_space:  global
        .offset:         8
        .size:           8
        .value_kind:     global_buffer
      - .address_space:  global
        .offset:         16
        .size:           8
        .value_kind:     global_buffer
      - .actual_access:  read_only
        .address_space:  global
        .offset:         24
        .size:           8
        .value_kind:     global_buffer
      - .actual_access:  read_only
        .address_space:  global
        .offset:         32
        .size:           8
        .value_kind:     global_buffer
      - .offset:         40
        .size:           4
        .value_kind:     by_value
      - .offset:         48
        .size:           8
        .value_kind:     by_value
      - .offset:         56
        .size:           8
        .value_kind:     by_value
      - .offset:         64
        .size:           4
        .value_kind:     by_value
      - .offset:         68
        .size:           4
        .value_kind:     by_value
      - .offset:         72
        .size:           4
        .value_kind:     by_value
      - .offset:         80
        .size:           4
        .value_kind:     hidden_block_count_x
      - .offset:         84
        .size:           4
        .value_kind:     hidden_block_count_y
      - .offset:         88
        .size:           4
        .value_kind:     hidden_block_count_z
      - .offset:         92
        .size:           2
        .value_kind:     hidden_group_size_x
      - .offset:         94
        .size:           2
        .value_kind:     hidden_group_size_y
      - .offset:         96
        .size:           2
        .value_kind:     hidden_group_size_z
      - .offset:         98
        .size:           2
        .value_kind:     hidden_remainder_x
      - .offset:         100
        .size:           2
        .value_kind:     hidden_remainder_y
      - .offset:         102
        .size:           2
        .value_kind:     hidden_remainder_z
      - .offset:         120
        .size:           8
        .value_kind:     hidden_global_offset_x
      - .offset:         128
        .size:           8
        .value_kind:     hidden_global_offset_y
      - .offset:         136
        .size:           8
        .value_kind:     hidden_global_offset_z
      - .offset:         144
        .size:           2
        .value_kind:     hidden_grid_dims
    .group_segment_fixed_size: 0
    .kernarg_segment_align: 8
    .kernarg_segment_size: 336
    .language:       OpenCL C
    .language_version:
      - 2
      - 0
    .max_flat_workgroup_size: 1024
    .name:           _ZN4vllm23rotary_embedding_kernelIN3c108BFloat16ELb1ELb0EEEvPKlPT_S6_PKS5_S8_illiii
    .private_segment_fixed_size: 0
    .sgpr_count:     41
    .sgpr_spill_count: 0
    .symbol:         _ZN4vllm23rotary_embedding_kernelIN3c108BFloat16ELb1ELb0EEEvPKlPT_S6_PKS5_S8_illiii.kd
    .uniform_work_group_size: 1
    .uses_dynamic_stack: false
    .vgpr_count:     22
    .vgpr_spill_count: 0
    .wavefront_size: 64
  - .agpr_count:     0
    .args:
      - .actual_access:  read_only
        .address_space:  global
        .offset:         0
        .size:           8
        .value_kind:     global_buffer
      - .address_space:  global
        .offset:         8
        .size:           8
        .value_kind:     global_buffer
      - .address_space:  global
        .offset:         16
        .size:           8
        .value_kind:     global_buffer
      - .actual_access:  read_only
        .address_space:  global
        .offset:         24
        .size:           8
        .value_kind:     global_buffer
      - .actual_access:  read_only
        .address_space:  global
        .offset:         32
        .size:           8
        .value_kind:     global_buffer
      - .offset:         40
        .size:           4
        .value_kind:     by_value
      - .offset:         48
        .size:           8
        .value_kind:     by_value
      - .offset:         56
        .size:           8
        .value_kind:     by_value
      - .offset:         64
        .size:           4
        .value_kind:     by_value
      - .offset:         68
        .size:           4
        .value_kind:     by_value
      - .offset:         72
        .size:           4
        .value_kind:     by_value
      - .offset:         80
        .size:           4
        .value_kind:     hidden_block_count_x
      - .offset:         84
        .size:           4
        .value_kind:     hidden_block_count_y
      - .offset:         88
        .size:           4
        .value_kind:     hidden_block_count_z
      - .offset:         92
        .size:           2
        .value_kind:     hidden_group_size_x
      - .offset:         94
        .size:           2
        .value_kind:     hidden_group_size_y
      - .offset:         96
        .size:           2
        .value_kind:     hidden_group_size_z
      - .offset:         98
        .size:           2
        .value_kind:     hidden_remainder_x
      - .offset:         100
        .size:           2
        .value_kind:     hidden_remainder_y
      - .offset:         102
        .size:           2
        .value_kind:     hidden_remainder_z
      - .offset:         120
        .size:           8
        .value_kind:     hidden_global_offset_x
      - .offset:         128
        .size:           8
        .value_kind:     hidden_global_offset_y
      - .offset:         136
        .size:           8
        .value_kind:     hidden_global_offset_z
      - .offset:         144
        .size:           2
        .value_kind:     hidden_grid_dims
    .group_segment_fixed_size: 0
    .kernarg_segment_align: 8
    .kernarg_segment_size: 336
    .language:       OpenCL C
    .language_version:
      - 2
      - 0
    .max_flat_workgroup_size: 1024
    .name:           _ZN4vllm23rotary_embedding_kernelIN3c108BFloat16ELb0ELb1EEEvPKlPT_S6_PKS5_S8_illiii
    .private_segment_fixed_size: 0
    .sgpr_count:     42
    .sgpr_spill_count: 0
    .symbol:         _ZN4vllm23rotary_embedding_kernelIN3c108BFloat16ELb0ELb1EEEvPKlPT_S6_PKS5_S8_illiii.kd
    .uniform_work_group_size: 1
    .uses_dynamic_stack: false
    .vgpr_count:     21
    .vgpr_spill_count: 0
    .wavefront_size: 64
  - .agpr_count:     0
    .args:
      - .actual_access:  read_only
        .address_space:  global
        .offset:         0
        .size:           8
        .value_kind:     global_buffer
      - .address_space:  global
        .offset:         8
        .size:           8
        .value_kind:     global_buffer
      - .address_space:  global
        .offset:         16
        .size:           8
        .value_kind:     global_buffer
      - .actual_access:  read_only
        .address_space:  global
        .offset:         24
        .size:           8
        .value_kind:     global_buffer
      - .actual_access:  read_only
        .address_space:  global
        .offset:         32
        .size:           8
        .value_kind:     global_buffer
      - .offset:         40
        .size:           4
        .value_kind:     by_value
      - .offset:         48
        .size:           8
        .value_kind:     by_value
      - .offset:         56
        .size:           8
        .value_kind:     by_value
      - .offset:         64
        .size:           4
        .value_kind:     by_value
      - .offset:         68
        .size:           4
        .value_kind:     by_value
      - .offset:         72
        .size:           4
        .value_kind:     by_value
      - .offset:         80
        .size:           4
        .value_kind:     hidden_block_count_x
      - .offset:         84
        .size:           4
        .value_kind:     hidden_block_count_y
      - .offset:         88
        .size:           4
        .value_kind:     hidden_block_count_z
      - .offset:         92
        .size:           2
        .value_kind:     hidden_group_size_x
      - .offset:         94
        .size:           2
        .value_kind:     hidden_group_size_y
      - .offset:         96
        .size:           2
        .value_kind:     hidden_group_size_z
      - .offset:         98
        .size:           2
        .value_kind:     hidden_remainder_x
      - .offset:         100
        .size:           2
        .value_kind:     hidden_remainder_y
      - .offset:         102
        .size:           2
        .value_kind:     hidden_remainder_z
      - .offset:         120
        .size:           8
        .value_kind:     hidden_global_offset_x
      - .offset:         128
        .size:           8
        .value_kind:     hidden_global_offset_y
      - .offset:         136
        .size:           8
        .value_kind:     hidden_global_offset_z
      - .offset:         144
        .size:           2
        .value_kind:     hidden_grid_dims
    .group_segment_fixed_size: 0
    .kernarg_segment_align: 8
    .kernarg_segment_size: 336
    .language:       OpenCL C
    .language_version:
      - 2
      - 0
    .max_flat_workgroup_size: 1024
    .name:           _ZN4vllm23rotary_embedding_kernelIN3c108BFloat16ELb0ELb0EEEvPKlPT_S6_PKS5_S8_illiii
    .private_segment_fixed_size: 0
    .sgpr_count:     40
    .sgpr_spill_count: 0
    .symbol:         _ZN4vllm23rotary_embedding_kernelIN3c108BFloat16ELb0ELb0EEEvPKlPT_S6_PKS5_S8_illiii.kd
    .uniform_work_group_size: 1
    .uses_dynamic_stack: false
    .vgpr_count:     21
    .vgpr_spill_count: 0
    .wavefront_size: 64
  - .agpr_count:     0
    .args:
      - .actual_access:  read_only
        .address_space:  global
        .offset:         0
        .size:           8
        .value_kind:     global_buffer
      - .address_space:  global
        .offset:         8
        .size:           8
        .value_kind:     global_buffer
      - .address_space:  global
        .offset:         16
        .size:           8
        .value_kind:     global_buffer
      - .actual_access:  read_only
        .address_space:  global
        .offset:         24
        .size:           8
        .value_kind:     global_buffer
      - .actual_access:  read_only
        .address_space:  global
        .offset:         32
        .size:           8
        .value_kind:     global_buffer
      - .actual_access:  read_only
        .address_space:  global
        .offset:         40
        .size:           8
        .value_kind:     global_buffer
      - .offset:         48
        .size:           4
        .value_kind:     by_value
      - .offset:         56
        .size:           8
        .value_kind:     by_value
      - .offset:         64
        .size:           8
        .value_kind:     by_value
      - .offset:         72
        .size:           4
        .value_kind:     by_value
      - .offset:         76
        .size:           4
        .value_kind:     by_value
      - .offset:         80
        .size:           4
        .value_kind:     by_value
      - .offset:         88
        .size:           4
        .value_kind:     hidden_block_count_x
      - .offset:         92
        .size:           4
        .value_kind:     hidden_block_count_y
      - .offset:         96
        .size:           4
        .value_kind:     hidden_block_count_z
      - .offset:         100
        .size:           2
        .value_kind:     hidden_group_size_x
      - .offset:         102
        .size:           2
        .value_kind:     hidden_group_size_y
      - .offset:         104
        .size:           2
        .value_kind:     hidden_group_size_z
      - .offset:         106
        .size:           2
        .value_kind:     hidden_remainder_x
      - .offset:         108
        .size:           2
        .value_kind:     hidden_remainder_y
      - .offset:         110
        .size:           2
        .value_kind:     hidden_remainder_z
      - .offset:         128
        .size:           8
        .value_kind:     hidden_global_offset_x
      - .offset:         136
        .size:           8
        .value_kind:     hidden_global_offset_y
      - .offset:         144
        .size:           8
        .value_kind:     hidden_global_offset_z
      - .offset:         152
        .size:           2
        .value_kind:     hidden_grid_dims
    .group_segment_fixed_size: 0
    .kernarg_segment_align: 8
    .kernarg_segment_size: 344
    .language:       OpenCL C
    .language_version:
      - 2
      - 0
    .max_flat_workgroup_size: 1024
    .name:           _ZN4vllm31batched_rotary_embedding_kernelIfLb1ELb1EEEvPKlPT_S4_PKS3_S6_S2_illiii
    .private_segment_fixed_size: 0
    .sgpr_count:     36
    .sgpr_spill_count: 0
    .symbol:         _ZN4vllm31batched_rotary_embedding_kernelIfLb1ELb1EEEvPKlPT_S4_PKS3_S6_S2_illiii.kd
    .uniform_work_group_size: 1
    .uses_dynamic_stack: false
    .vgpr_count:     17
    .vgpr_spill_count: 0
    .wavefront_size: 64
  - .agpr_count:     0
    .args:
      - .actual_access:  read_only
        .address_space:  global
        .offset:         0
        .size:           8
        .value_kind:     global_buffer
      - .address_space:  global
        .offset:         8
        .size:           8
        .value_kind:     global_buffer
      - .address_space:  global
        .offset:         16
        .size:           8
        .value_kind:     global_buffer
      - .actual_access:  read_only
        .address_space:  global
        .offset:         24
        .size:           8
        .value_kind:     global_buffer
      - .actual_access:  read_only
        .address_space:  global
        .offset:         32
        .size:           8
        .value_kind:     global_buffer
      - .actual_access:  read_only
        .address_space:  global
        .offset:         40
        .size:           8
        .value_kind:     global_buffer
      - .offset:         48
        .size:           4
        .value_kind:     by_value
      - .offset:         56
        .size:           8
        .value_kind:     by_value
      - .offset:         64
        .size:           8
        .value_kind:     by_value
      - .offset:         72
        .size:           4
        .value_kind:     by_value
      - .offset:         76
        .size:           4
        .value_kind:     by_value
      - .offset:         80
        .size:           4
        .value_kind:     by_value
      - .offset:         88
        .size:           4
        .value_kind:     hidden_block_count_x
      - .offset:         92
        .size:           4
        .value_kind:     hidden_block_count_y
      - .offset:         96
        .size:           4
        .value_kind:     hidden_block_count_z
      - .offset:         100
        .size:           2
        .value_kind:     hidden_group_size_x
      - .offset:         102
        .size:           2
        .value_kind:     hidden_group_size_y
      - .offset:         104
        .size:           2
        .value_kind:     hidden_group_size_z
      - .offset:         106
        .size:           2
        .value_kind:     hidden_remainder_x
      - .offset:         108
        .size:           2
        .value_kind:     hidden_remainder_y
      - .offset:         110
        .size:           2
        .value_kind:     hidden_remainder_z
      - .offset:         128
        .size:           8
        .value_kind:     hidden_global_offset_x
      - .offset:         136
        .size:           8
        .value_kind:     hidden_global_offset_y
      - .offset:         144
        .size:           8
        .value_kind:     hidden_global_offset_z
      - .offset:         152
        .size:           2
        .value_kind:     hidden_grid_dims
    .group_segment_fixed_size: 0
    .kernarg_segment_align: 8
    .kernarg_segment_size: 344
    .language:       OpenCL C
    .language_version:
      - 2
      - 0
    .max_flat_workgroup_size: 1024
    .name:           _ZN4vllm31batched_rotary_embedding_kernelIfLb1ELb0EEEvPKlPT_S4_PKS3_S6_S2_illiii
    .private_segment_fixed_size: 0
    .sgpr_count:     34
    .sgpr_spill_count: 0
    .symbol:         _ZN4vllm31batched_rotary_embedding_kernelIfLb1ELb0EEEvPKlPT_S4_PKS3_S6_S2_illiii.kd
    .uniform_work_group_size: 1
    .uses_dynamic_stack: false
    .vgpr_count:     17
    .vgpr_spill_count: 0
    .wavefront_size: 64
  - .agpr_count:     0
    .args:
      - .actual_access:  read_only
        .address_space:  global
        .offset:         0
        .size:           8
        .value_kind:     global_buffer
      - .address_space:  global
        .offset:         8
        .size:           8
        .value_kind:     global_buffer
      - .address_space:  global
        .offset:         16
        .size:           8
        .value_kind:     global_buffer
      - .actual_access:  read_only
        .address_space:  global
        .offset:         24
        .size:           8
        .value_kind:     global_buffer
      - .actual_access:  read_only
        .address_space:  global
        .offset:         32
        .size:           8
        .value_kind:     global_buffer
      - .actual_access:  read_only
        .address_space:  global
        .offset:         40
        .size:           8
        .value_kind:     global_buffer
      - .offset:         48
        .size:           4
        .value_kind:     by_value
      - .offset:         56
        .size:           8
        .value_kind:     by_value
      - .offset:         64
        .size:           8
        .value_kind:     by_value
      - .offset:         72
        .size:           4
        .value_kind:     by_value
      - .offset:         76
        .size:           4
        .value_kind:     by_value
      - .offset:         80
        .size:           4
        .value_kind:     by_value
      - .offset:         88
        .size:           4
        .value_kind:     hidden_block_count_x
      - .offset:         92
        .size:           4
        .value_kind:     hidden_block_count_y
      - .offset:         96
        .size:           4
        .value_kind:     hidden_block_count_z
      - .offset:         100
        .size:           2
        .value_kind:     hidden_group_size_x
      - .offset:         102
        .size:           2
        .value_kind:     hidden_group_size_y
      - .offset:         104
        .size:           2
        .value_kind:     hidden_group_size_z
      - .offset:         106
        .size:           2
        .value_kind:     hidden_remainder_x
      - .offset:         108
        .size:           2
        .value_kind:     hidden_remainder_y
      - .offset:         110
        .size:           2
        .value_kind:     hidden_remainder_z
      - .offset:         128
        .size:           8
        .value_kind:     hidden_global_offset_x
      - .offset:         136
        .size:           8
        .value_kind:     hidden_global_offset_y
      - .offset:         144
        .size:           8
        .value_kind:     hidden_global_offset_z
      - .offset:         152
        .size:           2
        .value_kind:     hidden_grid_dims
    .group_segment_fixed_size: 0
    .kernarg_segment_align: 8
    .kernarg_segment_size: 344
    .language:       OpenCL C
    .language_version:
      - 2
      - 0
    .max_flat_workgroup_size: 1024
    .name:           _ZN4vllm31batched_rotary_embedding_kernelIfLb0ELb1EEEvPKlPT_S4_PKS3_S6_S2_illiii
    .private_segment_fixed_size: 0
    .sgpr_count:     36
    .sgpr_spill_count: 0
    .symbol:         _ZN4vllm31batched_rotary_embedding_kernelIfLb0ELb1EEEvPKlPT_S4_PKS3_S6_S2_illiii.kd
    .uniform_work_group_size: 1
    .uses_dynamic_stack: false
    .vgpr_count:     18
    .vgpr_spill_count: 0
    .wavefront_size: 64
  - .agpr_count:     0
    .args:
      - .actual_access:  read_only
        .address_space:  global
        .offset:         0
        .size:           8
        .value_kind:     global_buffer
      - .address_space:  global
        .offset:         8
        .size:           8
        .value_kind:     global_buffer
      - .address_space:  global
        .offset:         16
        .size:           8
        .value_kind:     global_buffer
      - .actual_access:  read_only
        .address_space:  global
        .offset:         24
        .size:           8
        .value_kind:     global_buffer
      - .actual_access:  read_only
        .address_space:  global
        .offset:         32
        .size:           8
        .value_kind:     global_buffer
      - .actual_access:  read_only
        .address_space:  global
        .offset:         40
        .size:           8
        .value_kind:     global_buffer
      - .offset:         48
        .size:           4
        .value_kind:     by_value
      - .offset:         56
        .size:           8
        .value_kind:     by_value
      - .offset:         64
        .size:           8
        .value_kind:     by_value
      - .offset:         72
        .size:           4
        .value_kind:     by_value
      - .offset:         76
        .size:           4
        .value_kind:     by_value
      - .offset:         80
        .size:           4
        .value_kind:     by_value
      - .offset:         88
        .size:           4
        .value_kind:     hidden_block_count_x
      - .offset:         92
        .size:           4
        .value_kind:     hidden_block_count_y
      - .offset:         96
        .size:           4
        .value_kind:     hidden_block_count_z
      - .offset:         100
        .size:           2
        .value_kind:     hidden_group_size_x
      - .offset:         102
        .size:           2
        .value_kind:     hidden_group_size_y
      - .offset:         104
        .size:           2
        .value_kind:     hidden_group_size_z
      - .offset:         106
        .size:           2
        .value_kind:     hidden_remainder_x
      - .offset:         108
        .size:           2
        .value_kind:     hidden_remainder_y
      - .offset:         110
        .size:           2
        .value_kind:     hidden_remainder_z
      - .offset:         128
        .size:           8
        .value_kind:     hidden_global_offset_x
      - .offset:         136
        .size:           8
        .value_kind:     hidden_global_offset_y
      - .offset:         144
        .size:           8
        .value_kind:     hidden_global_offset_z
      - .offset:         152
        .size:           2
        .value_kind:     hidden_grid_dims
    .group_segment_fixed_size: 0
    .kernarg_segment_align: 8
    .kernarg_segment_size: 344
    .language:       OpenCL C
    .language_version:
      - 2
      - 0
    .max_flat_workgroup_size: 1024
    .name:           _ZN4vllm31batched_rotary_embedding_kernelIfLb0ELb0EEEvPKlPT_S4_PKS3_S6_S2_illiii
    .private_segment_fixed_size: 0
    .sgpr_count:     34
    .sgpr_spill_count: 0
    .symbol:         _ZN4vllm31batched_rotary_embedding_kernelIfLb0ELb0EEEvPKlPT_S4_PKS3_S6_S2_illiii.kd
    .uniform_work_group_size: 1
    .uses_dynamic_stack: false
    .vgpr_count:     18
    .vgpr_spill_count: 0
    .wavefront_size: 64
  - .agpr_count:     0
    .args:
      - .actual_access:  read_only
        .address_space:  global
        .offset:         0
        .size:           8
        .value_kind:     global_buffer
      - .address_space:  global
        .offset:         8
        .size:           8
        .value_kind:     global_buffer
      - .address_space:  global
        .offset:         16
        .size:           8
        .value_kind:     global_buffer
      - .actual_access:  read_only
        .address_space:  global
        .offset:         24
        .size:           8
        .value_kind:     global_buffer
      - .actual_access:  read_only
        .address_space:  global
        .offset:         32
        .size:           8
        .value_kind:     global_buffer
      - .actual_access:  read_only
        .address_space:  global
        .offset:         40
        .size:           8
        .value_kind:     global_buffer
      - .offset:         48
        .size:           4
        .value_kind:     by_value
      - .offset:         56
        .size:           8
        .value_kind:     by_value
      - .offset:         64
        .size:           8
        .value_kind:     by_value
      - .offset:         72
        .size:           4
        .value_kind:     by_value
      - .offset:         76
        .size:           4
        .value_kind:     by_value
      - .offset:         80
        .size:           4
        .value_kind:     by_value
      - .offset:         88
        .size:           4
        .value_kind:     hidden_block_count_x
      - .offset:         92
        .size:           4
        .value_kind:     hidden_block_count_y
      - .offset:         96
        .size:           4
        .value_kind:     hidden_block_count_z
      - .offset:         100
        .size:           2
        .value_kind:     hidden_group_size_x
      - .offset:         102
        .size:           2
        .value_kind:     hidden_group_size_y
      - .offset:         104
        .size:           2
        .value_kind:     hidden_group_size_z
      - .offset:         106
        .size:           2
        .value_kind:     hidden_remainder_x
      - .offset:         108
        .size:           2
        .value_kind:     hidden_remainder_y
      - .offset:         110
        .size:           2
        .value_kind:     hidden_remainder_z
      - .offset:         128
        .size:           8
        .value_kind:     hidden_global_offset_x
      - .offset:         136
        .size:           8
        .value_kind:     hidden_global_offset_y
      - .offset:         144
        .size:           8
        .value_kind:     hidden_global_offset_z
      - .offset:         152
        .size:           2
        .value_kind:     hidden_grid_dims
    .group_segment_fixed_size: 0
    .kernarg_segment_align: 8
    .kernarg_segment_size: 344
    .language:       OpenCL C
    .language_version:
      - 2
      - 0
    .max_flat_workgroup_size: 1024
    .name:           _ZN4vllm31batched_rotary_embedding_kernelIN3c104HalfELb1ELb1EEEvPKlPT_S6_PKS5_S8_S4_illiii
    .private_segment_fixed_size: 0
    .sgpr_count:     36
    .sgpr_spill_count: 0
    .symbol:         _ZN4vllm31batched_rotary_embedding_kernelIN3c104HalfELb1ELb1EEEvPKlPT_S6_PKS5_S8_S4_illiii.kd
    .uniform_work_group_size: 1
    .uses_dynamic_stack: false
    .vgpr_count:     17
    .vgpr_spill_count: 0
    .wavefront_size: 64
  - .agpr_count:     0
    .args:
      - .actual_access:  read_only
        .address_space:  global
        .offset:         0
        .size:           8
        .value_kind:     global_buffer
      - .address_space:  global
        .offset:         8
        .size:           8
        .value_kind:     global_buffer
      - .address_space:  global
        .offset:         16
        .size:           8
        .value_kind:     global_buffer
      - .actual_access:  read_only
        .address_space:  global
        .offset:         24
        .size:           8
        .value_kind:     global_buffer
      - .actual_access:  read_only
        .address_space:  global
        .offset:         32
        .size:           8
        .value_kind:     global_buffer
      - .actual_access:  read_only
        .address_space:  global
        .offset:         40
        .size:           8
        .value_kind:     global_buffer
      - .offset:         48
        .size:           4
        .value_kind:     by_value
      - .offset:         56
        .size:           8
        .value_kind:     by_value
      - .offset:         64
        .size:           8
        .value_kind:     by_value
      - .offset:         72
        .size:           4
        .value_kind:     by_value
      - .offset:         76
        .size:           4
        .value_kind:     by_value
      - .offset:         80
        .size:           4
        .value_kind:     by_value
      - .offset:         88
        .size:           4
        .value_kind:     hidden_block_count_x
      - .offset:         92
        .size:           4
        .value_kind:     hidden_block_count_y
      - .offset:         96
        .size:           4
        .value_kind:     hidden_block_count_z
      - .offset:         100
        .size:           2
        .value_kind:     hidden_group_size_x
      - .offset:         102
        .size:           2
        .value_kind:     hidden_group_size_y
      - .offset:         104
        .size:           2
        .value_kind:     hidden_group_size_z
      - .offset:         106
        .size:           2
        .value_kind:     hidden_remainder_x
      - .offset:         108
        .size:           2
        .value_kind:     hidden_remainder_y
      - .offset:         110
        .size:           2
        .value_kind:     hidden_remainder_z
      - .offset:         128
        .size:           8
        .value_kind:     hidden_global_offset_x
      - .offset:         136
        .size:           8
        .value_kind:     hidden_global_offset_y
      - .offset:         144
        .size:           8
        .value_kind:     hidden_global_offset_z
      - .offset:         152
        .size:           2
        .value_kind:     hidden_grid_dims
    .group_segment_fixed_size: 0
    .kernarg_segment_align: 8
    .kernarg_segment_size: 344
    .language:       OpenCL C
    .language_version:
      - 2
      - 0
    .max_flat_workgroup_size: 1024
    .name:           _ZN4vllm31batched_rotary_embedding_kernelIN3c104HalfELb1ELb0EEEvPKlPT_S6_PKS5_S8_S4_illiii
    .private_segment_fixed_size: 0
    .sgpr_count:     34
    .sgpr_spill_count: 0
    .symbol:         _ZN4vllm31batched_rotary_embedding_kernelIN3c104HalfELb1ELb0EEEvPKlPT_S6_PKS5_S8_S4_illiii.kd
    .uniform_work_group_size: 1
    .uses_dynamic_stack: false
    .vgpr_count:     17
    .vgpr_spill_count: 0
    .wavefront_size: 64
  - .agpr_count:     0
    .args:
      - .actual_access:  read_only
        .address_space:  global
        .offset:         0
        .size:           8
        .value_kind:     global_buffer
      - .address_space:  global
        .offset:         8
        .size:           8
        .value_kind:     global_buffer
      - .address_space:  global
        .offset:         16
        .size:           8
        .value_kind:     global_buffer
      - .actual_access:  read_only
        .address_space:  global
        .offset:         24
        .size:           8
        .value_kind:     global_buffer
      - .actual_access:  read_only
        .address_space:  global
        .offset:         32
        .size:           8
        .value_kind:     global_buffer
      - .actual_access:  read_only
        .address_space:  global
        .offset:         40
        .size:           8
        .value_kind:     global_buffer
      - .offset:         48
        .size:           4
        .value_kind:     by_value
      - .offset:         56
        .size:           8
        .value_kind:     by_value
      - .offset:         64
        .size:           8
        .value_kind:     by_value
      - .offset:         72
        .size:           4
        .value_kind:     by_value
      - .offset:         76
        .size:           4
        .value_kind:     by_value
      - .offset:         80
        .size:           4
        .value_kind:     by_value
      - .offset:         88
        .size:           4
        .value_kind:     hidden_block_count_x
      - .offset:         92
        .size:           4
        .value_kind:     hidden_block_count_y
      - .offset:         96
        .size:           4
        .value_kind:     hidden_block_count_z
      - .offset:         100
        .size:           2
        .value_kind:     hidden_group_size_x
      - .offset:         102
        .size:           2
        .value_kind:     hidden_group_size_y
      - .offset:         104
        .size:           2
        .value_kind:     hidden_group_size_z
      - .offset:         106
        .size:           2
        .value_kind:     hidden_remainder_x
      - .offset:         108
        .size:           2
        .value_kind:     hidden_remainder_y
      - .offset:         110
        .size:           2
        .value_kind:     hidden_remainder_z
      - .offset:         128
        .size:           8
        .value_kind:     hidden_global_offset_x
      - .offset:         136
        .size:           8
        .value_kind:     hidden_global_offset_y
      - .offset:         144
        .size:           8
        .value_kind:     hidden_global_offset_z
      - .offset:         152
        .size:           2
        .value_kind:     hidden_grid_dims
    .group_segment_fixed_size: 0
    .kernarg_segment_align: 8
    .kernarg_segment_size: 344
    .language:       OpenCL C
    .language_version:
      - 2
      - 0
    .max_flat_workgroup_size: 1024
    .name:           _ZN4vllm31batched_rotary_embedding_kernelIN3c104HalfELb0ELb1EEEvPKlPT_S6_PKS5_S8_S4_illiii
    .private_segment_fixed_size: 0
    .sgpr_count:     36
    .sgpr_spill_count: 0
    .symbol:         _ZN4vllm31batched_rotary_embedding_kernelIN3c104HalfELb0ELb1EEEvPKlPT_S6_PKS5_S8_S4_illiii.kd
    .uniform_work_group_size: 1
    .uses_dynamic_stack: false
    .vgpr_count:     18
    .vgpr_spill_count: 0
    .wavefront_size: 64
  - .agpr_count:     0
    .args:
      - .actual_access:  read_only
        .address_space:  global
        .offset:         0
        .size:           8
        .value_kind:     global_buffer
      - .address_space:  global
        .offset:         8
        .size:           8
        .value_kind:     global_buffer
      - .address_space:  global
        .offset:         16
        .size:           8
        .value_kind:     global_buffer
      - .actual_access:  read_only
        .address_space:  global
        .offset:         24
        .size:           8
        .value_kind:     global_buffer
      - .actual_access:  read_only
        .address_space:  global
        .offset:         32
        .size:           8
        .value_kind:     global_buffer
      - .actual_access:  read_only
        .address_space:  global
        .offset:         40
        .size:           8
        .value_kind:     global_buffer
      - .offset:         48
        .size:           4
        .value_kind:     by_value
      - .offset:         56
        .size:           8
        .value_kind:     by_value
      - .offset:         64
        .size:           8
        .value_kind:     by_value
      - .offset:         72
        .size:           4
        .value_kind:     by_value
      - .offset:         76
        .size:           4
        .value_kind:     by_value
      - .offset:         80
        .size:           4
        .value_kind:     by_value
      - .offset:         88
        .size:           4
        .value_kind:     hidden_block_count_x
      - .offset:         92
        .size:           4
        .value_kind:     hidden_block_count_y
      - .offset:         96
        .size:           4
        .value_kind:     hidden_block_count_z
      - .offset:         100
        .size:           2
        .value_kind:     hidden_group_size_x
      - .offset:         102
        .size:           2
        .value_kind:     hidden_group_size_y
      - .offset:         104
        .size:           2
        .value_kind:     hidden_group_size_z
      - .offset:         106
        .size:           2
        .value_kind:     hidden_remainder_x
      - .offset:         108
        .size:           2
        .value_kind:     hidden_remainder_y
      - .offset:         110
        .size:           2
        .value_kind:     hidden_remainder_z
      - .offset:         128
        .size:           8
        .value_kind:     hidden_global_offset_x
      - .offset:         136
        .size:           8
        .value_kind:     hidden_global_offset_y
      - .offset:         144
        .size:           8
        .value_kind:     hidden_global_offset_z
      - .offset:         152
        .size:           2
        .value_kind:     hidden_grid_dims
    .group_segment_fixed_size: 0
    .kernarg_segment_align: 8
    .kernarg_segment_size: 344
    .language:       OpenCL C
    .language_version:
      - 2
      - 0
    .max_flat_workgroup_size: 1024
    .name:           _ZN4vllm31batched_rotary_embedding_kernelIN3c104HalfELb0ELb0EEEvPKlPT_S6_PKS5_S8_S4_illiii
    .private_segment_fixed_size: 0
    .sgpr_count:     34
    .sgpr_spill_count: 0
    .symbol:         _ZN4vllm31batched_rotary_embedding_kernelIN3c104HalfELb0ELb0EEEvPKlPT_S6_PKS5_S8_S4_illiii.kd
    .uniform_work_group_size: 1
    .uses_dynamic_stack: false
    .vgpr_count:     18
    .vgpr_spill_count: 0
    .wavefront_size: 64
  - .agpr_count:     0
    .args:
      - .actual_access:  read_only
        .address_space:  global
        .offset:         0
        .size:           8
        .value_kind:     global_buffer
      - .address_space:  global
        .offset:         8
        .size:           8
        .value_kind:     global_buffer
      - .address_space:  global
        .offset:         16
        .size:           8
        .value_kind:     global_buffer
      - .actual_access:  read_only
        .address_space:  global
        .offset:         24
        .size:           8
        .value_kind:     global_buffer
      - .actual_access:  read_only
        .address_space:  global
        .offset:         32
        .size:           8
        .value_kind:     global_buffer
      - .actual_access:  read_only
        .address_space:  global
        .offset:         40
        .size:           8
        .value_kind:     global_buffer
      - .offset:         48
        .size:           4
        .value_kind:     by_value
      - .offset:         56
        .size:           8
        .value_kind:     by_value
      - .offset:         64
        .size:           8
        .value_kind:     by_value
      - .offset:         72
        .size:           4
        .value_kind:     by_value
      - .offset:         76
        .size:           4
        .value_kind:     by_value
      - .offset:         80
        .size:           4
        .value_kind:     by_value
      - .offset:         88
        .size:           4
        .value_kind:     hidden_block_count_x
      - .offset:         92
        .size:           4
        .value_kind:     hidden_block_count_y
      - .offset:         96
        .size:           4
        .value_kind:     hidden_block_count_z
      - .offset:         100
        .size:           2
        .value_kind:     hidden_group_size_x
      - .offset:         102
        .size:           2
        .value_kind:     hidden_group_size_y
      - .offset:         104
        .size:           2
        .value_kind:     hidden_group_size_z
      - .offset:         106
        .size:           2
        .value_kind:     hidden_remainder_x
      - .offset:         108
        .size:           2
        .value_kind:     hidden_remainder_y
      - .offset:         110
        .size:           2
        .value_kind:     hidden_remainder_z
      - .offset:         128
        .size:           8
        .value_kind:     hidden_global_offset_x
      - .offset:         136
        .size:           8
        .value_kind:     hidden_global_offset_y
      - .offset:         144
        .size:           8
        .value_kind:     hidden_global_offset_z
      - .offset:         152
        .size:           2
        .value_kind:     hidden_grid_dims
    .group_segment_fixed_size: 0
    .kernarg_segment_align: 8
    .kernarg_segment_size: 344
    .language:       OpenCL C
    .language_version:
      - 2
      - 0
    .max_flat_workgroup_size: 1024
    .name:           _ZN4vllm31batched_rotary_embedding_kernelIN3c108BFloat16ELb1ELb1EEEvPKlPT_S6_PKS5_S8_S4_illiii
    .private_segment_fixed_size: 0
    .sgpr_count:     43
    .sgpr_spill_count: 0
    .symbol:         _ZN4vllm31batched_rotary_embedding_kernelIN3c108BFloat16ELb1ELb1EEEvPKlPT_S6_PKS5_S8_S4_illiii.kd
    .uniform_work_group_size: 1
    .uses_dynamic_stack: false
    .vgpr_count:     22
    .vgpr_spill_count: 0
    .wavefront_size: 64
  - .agpr_count:     0
    .args:
      - .actual_access:  read_only
        .address_space:  global
        .offset:         0
        .size:           8
        .value_kind:     global_buffer
      - .address_space:  global
        .offset:         8
        .size:           8
        .value_kind:     global_buffer
      - .address_space:  global
        .offset:         16
        .size:           8
        .value_kind:     global_buffer
      - .actual_access:  read_only
        .address_space:  global
        .offset:         24
        .size:           8
        .value_kind:     global_buffer
      - .actual_access:  read_only
        .address_space:  global
        .offset:         32
        .size:           8
        .value_kind:     global_buffer
      - .actual_access:  read_only
        .address_space:  global
        .offset:         40
        .size:           8
        .value_kind:     global_buffer
      - .offset:         48
        .size:           4
        .value_kind:     by_value
      - .offset:         56
        .size:           8
        .value_kind:     by_value
      - .offset:         64
        .size:           8
        .value_kind:     by_value
      - .offset:         72
        .size:           4
        .value_kind:     by_value
      - .offset:         76
        .size:           4
        .value_kind:     by_value
      - .offset:         80
        .size:           4
        .value_kind:     by_value
      - .offset:         88
        .size:           4
        .value_kind:     hidden_block_count_x
      - .offset:         92
        .size:           4
        .value_kind:     hidden_block_count_y
      - .offset:         96
        .size:           4
        .value_kind:     hidden_block_count_z
      - .offset:         100
        .size:           2
        .value_kind:     hidden_group_size_x
      - .offset:         102
        .size:           2
        .value_kind:     hidden_group_size_y
      - .offset:         104
        .size:           2
        .value_kind:     hidden_group_size_z
      - .offset:         106
        .size:           2
        .value_kind:     hidden_remainder_x
      - .offset:         108
        .size:           2
        .value_kind:     hidden_remainder_y
      - .offset:         110
        .size:           2
        .value_kind:     hidden_remainder_z
      - .offset:         128
        .size:           8
        .value_kind:     hidden_global_offset_x
      - .offset:         136
        .size:           8
        .value_kind:     hidden_global_offset_y
      - .offset:         144
        .size:           8
        .value_kind:     hidden_global_offset_z
      - .offset:         152
        .size:           2
        .value_kind:     hidden_grid_dims
    .group_segment_fixed_size: 0
    .kernarg_segment_align: 8
    .kernarg_segment_size: 344
    .language:       OpenCL C
    .language_version:
      - 2
      - 0
    .max_flat_workgroup_size: 1024
    .name:           _ZN4vllm31batched_rotary_embedding_kernelIN3c108BFloat16ELb1ELb0EEEvPKlPT_S6_PKS5_S8_S4_illiii
    .private_segment_fixed_size: 0
    .sgpr_count:     41
    .sgpr_spill_count: 0
    .symbol:         _ZN4vllm31batched_rotary_embedding_kernelIN3c108BFloat16ELb1ELb0EEEvPKlPT_S6_PKS5_S8_S4_illiii.kd
    .uniform_work_group_size: 1
    .uses_dynamic_stack: false
    .vgpr_count:     22
    .vgpr_spill_count: 0
    .wavefront_size: 64
  - .agpr_count:     0
    .args:
      - .actual_access:  read_only
        .address_space:  global
        .offset:         0
        .size:           8
        .value_kind:     global_buffer
      - .address_space:  global
        .offset:         8
        .size:           8
        .value_kind:     global_buffer
      - .address_space:  global
        .offset:         16
        .size:           8
        .value_kind:     global_buffer
      - .actual_access:  read_only
        .address_space:  global
        .offset:         24
        .size:           8
        .value_kind:     global_buffer
      - .actual_access:  read_only
        .address_space:  global
        .offset:         32
        .size:           8
        .value_kind:     global_buffer
      - .actual_access:  read_only
        .address_space:  global
        .offset:         40
        .size:           8
        .value_kind:     global_buffer
      - .offset:         48
        .size:           4
        .value_kind:     by_value
      - .offset:         56
        .size:           8
        .value_kind:     by_value
      - .offset:         64
        .size:           8
        .value_kind:     by_value
      - .offset:         72
        .size:           4
        .value_kind:     by_value
      - .offset:         76
        .size:           4
        .value_kind:     by_value
      - .offset:         80
        .size:           4
        .value_kind:     by_value
      - .offset:         88
        .size:           4
        .value_kind:     hidden_block_count_x
      - .offset:         92
        .size:           4
        .value_kind:     hidden_block_count_y
      - .offset:         96
        .size:           4
        .value_kind:     hidden_block_count_z
      - .offset:         100
        .size:           2
        .value_kind:     hidden_group_size_x
      - .offset:         102
        .size:           2
        .value_kind:     hidden_group_size_y
      - .offset:         104
        .size:           2
        .value_kind:     hidden_group_size_z
      - .offset:         106
        .size:           2
        .value_kind:     hidden_remainder_x
      - .offset:         108
        .size:           2
        .value_kind:     hidden_remainder_y
      - .offset:         110
        .size:           2
        .value_kind:     hidden_remainder_z
      - .offset:         128
        .size:           8
        .value_kind:     hidden_global_offset_x
      - .offset:         136
        .size:           8
        .value_kind:     hidden_global_offset_y
      - .offset:         144
        .size:           8
        .value_kind:     hidden_global_offset_z
      - .offset:         152
        .size:           2
        .value_kind:     hidden_grid_dims
    .group_segment_fixed_size: 0
    .kernarg_segment_align: 8
    .kernarg_segment_size: 344
    .language:       OpenCL C
    .language_version:
      - 2
      - 0
    .max_flat_workgroup_size: 1024
    .name:           _ZN4vllm31batched_rotary_embedding_kernelIN3c108BFloat16ELb0ELb1EEEvPKlPT_S6_PKS5_S8_S4_illiii
    .private_segment_fixed_size: 0
    .sgpr_count:     42
    .sgpr_spill_count: 0
    .symbol:         _ZN4vllm31batched_rotary_embedding_kernelIN3c108BFloat16ELb0ELb1EEEvPKlPT_S6_PKS5_S8_S4_illiii.kd
    .uniform_work_group_size: 1
    .uses_dynamic_stack: false
    .vgpr_count:     21
    .vgpr_spill_count: 0
    .wavefront_size: 64
  - .agpr_count:     0
    .args:
      - .actual_access:  read_only
        .address_space:  global
        .offset:         0
        .size:           8
        .value_kind:     global_buffer
      - .address_space:  global
        .offset:         8
        .size:           8
        .value_kind:     global_buffer
      - .address_space:  global
        .offset:         16
        .size:           8
        .value_kind:     global_buffer
      - .actual_access:  read_only
        .address_space:  global
        .offset:         24
        .size:           8
        .value_kind:     global_buffer
      - .actual_access:  read_only
        .address_space:  global
        .offset:         32
        .size:           8
        .value_kind:     global_buffer
      - .actual_access:  read_only
        .address_space:  global
        .offset:         40
        .size:           8
        .value_kind:     global_buffer
      - .offset:         48
        .size:           4
        .value_kind:     by_value
      - .offset:         56
        .size:           8
        .value_kind:     by_value
      - .offset:         64
        .size:           8
        .value_kind:     by_value
      - .offset:         72
        .size:           4
        .value_kind:     by_value
      - .offset:         76
        .size:           4
        .value_kind:     by_value
      - .offset:         80
        .size:           4
        .value_kind:     by_value
      - .offset:         88
        .size:           4
        .value_kind:     hidden_block_count_x
      - .offset:         92
        .size:           4
        .value_kind:     hidden_block_count_y
      - .offset:         96
        .size:           4
        .value_kind:     hidden_block_count_z
      - .offset:         100
        .size:           2
        .value_kind:     hidden_group_size_x
      - .offset:         102
        .size:           2
        .value_kind:     hidden_group_size_y
      - .offset:         104
        .size:           2
        .value_kind:     hidden_group_size_z
      - .offset:         106
        .size:           2
        .value_kind:     hidden_remainder_x
      - .offset:         108
        .size:           2
        .value_kind:     hidden_remainder_y
      - .offset:         110
        .size:           2
        .value_kind:     hidden_remainder_z
      - .offset:         128
        .size:           8
        .value_kind:     hidden_global_offset_x
      - .offset:         136
        .size:           8
        .value_kind:     hidden_global_offset_y
      - .offset:         144
        .size:           8
        .value_kind:     hidden_global_offset_z
      - .offset:         152
        .size:           2
        .value_kind:     hidden_grid_dims
    .group_segment_fixed_size: 0
    .kernarg_segment_align: 8
    .kernarg_segment_size: 344
    .language:       OpenCL C
    .language_version:
      - 2
      - 0
    .max_flat_workgroup_size: 1024
    .name:           _ZN4vllm31batched_rotary_embedding_kernelIN3c108BFloat16ELb0ELb0EEEvPKlPT_S6_PKS5_S8_S4_illiii
    .private_segment_fixed_size: 0
    .sgpr_count:     40
    .sgpr_spill_count: 0
    .symbol:         _ZN4vllm31batched_rotary_embedding_kernelIN3c108BFloat16ELb0ELb0EEEvPKlPT_S6_PKS5_S8_S4_illiii.kd
    .uniform_work_group_size: 1
    .uses_dynamic_stack: false
    .vgpr_count:     21
    .vgpr_spill_count: 0
    .wavefront_size: 64
amdhsa.target:   amdgcn-amd-amdhsa--gfx90a
amdhsa.version:
  - 1
  - 2
...

	.end_amdgpu_metadata
